;; amdgpu-corpus repo=ROCm/rocFFT kind=compiled arch=gfx1201 opt=O3
	.text
	.amdgcn_target "amdgcn-amd-amdhsa--gfx1201"
	.amdhsa_code_object_version 6
	.protected	fft_rtc_fwd_len306_factors_17_2_9_wgs_238_tpt_34_halfLds_dp_op_CI_CI_sbrr_dirReg ; -- Begin function fft_rtc_fwd_len306_factors_17_2_9_wgs_238_tpt_34_halfLds_dp_op_CI_CI_sbrr_dirReg
	.globl	fft_rtc_fwd_len306_factors_17_2_9_wgs_238_tpt_34_halfLds_dp_op_CI_CI_sbrr_dirReg
	.p2align	8
	.type	fft_rtc_fwd_len306_factors_17_2_9_wgs_238_tpt_34_halfLds_dp_op_CI_CI_sbrr_dirReg,@function
fft_rtc_fwd_len306_factors_17_2_9_wgs_238_tpt_34_halfLds_dp_op_CI_CI_sbrr_dirReg: ; @fft_rtc_fwd_len306_factors_17_2_9_wgs_238_tpt_34_halfLds_dp_op_CI_CI_sbrr_dirReg
; %bb.0:
	s_clause 0x1
	s_load_b128 s[12:15], s[0:1], 0x18
	s_load_b128 s[8:11], s[0:1], 0x0
	v_mul_u32_u24_e32 v1, 0x788, v0
	v_mov_b32_e32 v20, 0
	s_load_b128 s[4:7], s[0:1], 0x58
	s_wait_kmcnt 0x0
	s_load_b64 s[18:19], s[12:13], 0x0
	s_load_b64 s[16:17], s[14:15], 0x0
	v_lshrrev_b32_e32 v2, 16, v1
	v_mov_b32_e32 v1, 0
	v_cmp_lt_u64_e64 s2, s[10:11], 2
	s_delay_alu instid0(VALU_DEP_3) | instskip(NEXT) | instid1(VALU_DEP_3)
	v_mad_co_u64_u32 v[72:73], null, ttmp9, 7, v[2:3]
	v_mov_b32_e32 v73, v1
	v_mov_b32_e32 v21, 0
	s_delay_alu instid0(VALU_DEP_4) | instskip(NEXT) | instid1(VALU_DEP_2)
	s_and_b32 vcc_lo, exec_lo, s2
	v_dual_mov_b32 v91, v73 :: v_dual_mov_b32 v90, v72
	s_delay_alu instid0(VALU_DEP_2)
	v_dual_mov_b32 v89, v21 :: v_dual_mov_b32 v88, v20
	s_cbranch_vccnz .LBB0_8
; %bb.1:
	s_load_b64 s[2:3], s[0:1], 0x10
	v_dual_mov_b32 v20, 0 :: v_dual_mov_b32 v3, v72
	v_dual_mov_b32 v21, 0 :: v_dual_mov_b32 v4, v73
	s_add_nc_u64 s[20:21], s[14:15], 8
	s_add_nc_u64 s[22:23], s[12:13], 8
	s_mov_b64 s[24:25], 1
	s_delay_alu instid0(VALU_DEP_1)
	v_dual_mov_b32 v89, v21 :: v_dual_mov_b32 v88, v20
	s_wait_kmcnt 0x0
	s_add_nc_u64 s[26:27], s[2:3], 8
	s_mov_b32 s3, 0
.LBB0_2:                                ; =>This Inner Loop Header: Depth=1
	s_load_b64 s[28:29], s[26:27], 0x0
                                        ; implicit-def: $vgpr90_vgpr91
	s_mov_b32 s2, exec_lo
	s_wait_kmcnt 0x0
	v_or_b32_e32 v2, s29, v4
	s_delay_alu instid0(VALU_DEP_1)
	v_cmpx_ne_u64_e32 0, v[1:2]
	s_wait_alu 0xfffe
	s_xor_b32 s30, exec_lo, s2
	s_cbranch_execz .LBB0_4
; %bb.3:                                ;   in Loop: Header=BB0_2 Depth=1
	s_cvt_f32_u32 s2, s28
	s_cvt_f32_u32 s31, s29
	s_sub_nc_u64 s[36:37], 0, s[28:29]
	s_wait_alu 0xfffe
	s_delay_alu instid0(SALU_CYCLE_1) | instskip(SKIP_1) | instid1(SALU_CYCLE_2)
	s_fmamk_f32 s2, s31, 0x4f800000, s2
	s_wait_alu 0xfffe
	v_s_rcp_f32 s2, s2
	s_delay_alu instid0(TRANS32_DEP_1) | instskip(SKIP_1) | instid1(SALU_CYCLE_2)
	s_mul_f32 s2, s2, 0x5f7ffffc
	s_wait_alu 0xfffe
	s_mul_f32 s31, s2, 0x2f800000
	s_wait_alu 0xfffe
	s_delay_alu instid0(SALU_CYCLE_2) | instskip(SKIP_1) | instid1(SALU_CYCLE_2)
	s_trunc_f32 s31, s31
	s_wait_alu 0xfffe
	s_fmamk_f32 s2, s31, 0xcf800000, s2
	s_cvt_u32_f32 s35, s31
	s_wait_alu 0xfffe
	s_delay_alu instid0(SALU_CYCLE_1) | instskip(SKIP_1) | instid1(SALU_CYCLE_2)
	s_cvt_u32_f32 s34, s2
	s_wait_alu 0xfffe
	s_mul_u64 s[38:39], s[36:37], s[34:35]
	s_wait_alu 0xfffe
	s_mul_hi_u32 s41, s34, s39
	s_mul_i32 s40, s34, s39
	s_mul_hi_u32 s2, s34, s38
	s_mul_i32 s33, s35, s38
	s_wait_alu 0xfffe
	s_add_nc_u64 s[40:41], s[2:3], s[40:41]
	s_mul_hi_u32 s31, s35, s38
	s_mul_hi_u32 s42, s35, s39
	s_add_co_u32 s2, s40, s33
	s_wait_alu 0xfffe
	s_add_co_ci_u32 s2, s41, s31
	s_mul_i32 s38, s35, s39
	s_add_co_ci_u32 s39, s42, 0
	s_wait_alu 0xfffe
	s_add_nc_u64 s[38:39], s[2:3], s[38:39]
	s_wait_alu 0xfffe
	v_add_co_u32 v2, s2, s34, s38
	s_delay_alu instid0(VALU_DEP_1) | instskip(SKIP_1) | instid1(VALU_DEP_1)
	s_cmp_lg_u32 s2, 0
	s_add_co_ci_u32 s35, s35, s39
	v_readfirstlane_b32 s34, v2
	s_wait_alu 0xfffe
	s_delay_alu instid0(VALU_DEP_1)
	s_mul_u64 s[36:37], s[36:37], s[34:35]
	s_wait_alu 0xfffe
	s_mul_hi_u32 s39, s34, s37
	s_mul_i32 s38, s34, s37
	s_mul_hi_u32 s2, s34, s36
	s_mul_i32 s33, s35, s36
	s_wait_alu 0xfffe
	s_add_nc_u64 s[38:39], s[2:3], s[38:39]
	s_mul_hi_u32 s31, s35, s36
	s_mul_hi_u32 s34, s35, s37
	s_wait_alu 0xfffe
	s_add_co_u32 s2, s38, s33
	s_add_co_ci_u32 s2, s39, s31
	s_mul_i32 s36, s35, s37
	s_add_co_ci_u32 s37, s34, 0
	s_wait_alu 0xfffe
	s_add_nc_u64 s[36:37], s[2:3], s[36:37]
	s_wait_alu 0xfffe
	v_add_co_u32 v2, s2, v2, s36
	s_delay_alu instid0(VALU_DEP_1) | instskip(SKIP_1) | instid1(VALU_DEP_1)
	s_cmp_lg_u32 s2, 0
	s_add_co_ci_u32 s2, s35, s37
	v_mul_hi_u32 v11, v3, v2
	s_wait_alu 0xfffe
	v_mad_co_u64_u32 v[5:6], null, v3, s2, 0
	v_mad_co_u64_u32 v[7:8], null, v4, v2, 0
	;; [unrolled: 1-line block ×3, first 2 shown]
	s_delay_alu instid0(VALU_DEP_3) | instskip(SKIP_1) | instid1(VALU_DEP_4)
	v_add_co_u32 v2, vcc_lo, v11, v5
	s_wait_alu 0xfffd
	v_add_co_ci_u32_e32 v5, vcc_lo, 0, v6, vcc_lo
	s_delay_alu instid0(VALU_DEP_2) | instskip(SKIP_1) | instid1(VALU_DEP_2)
	v_add_co_u32 v2, vcc_lo, v2, v7
	s_wait_alu 0xfffd
	v_add_co_ci_u32_e32 v2, vcc_lo, v5, v8, vcc_lo
	s_wait_alu 0xfffd
	v_add_co_ci_u32_e32 v5, vcc_lo, 0, v10, vcc_lo
	s_delay_alu instid0(VALU_DEP_2) | instskip(SKIP_1) | instid1(VALU_DEP_2)
	v_add_co_u32 v2, vcc_lo, v2, v9
	s_wait_alu 0xfffd
	v_add_co_ci_u32_e32 v7, vcc_lo, 0, v5, vcc_lo
	s_delay_alu instid0(VALU_DEP_2) | instskip(SKIP_1) | instid1(VALU_DEP_3)
	v_mul_lo_u32 v8, s29, v2
	v_mad_co_u64_u32 v[5:6], null, s28, v2, 0
	v_mul_lo_u32 v9, s28, v7
	s_delay_alu instid0(VALU_DEP_2) | instskip(NEXT) | instid1(VALU_DEP_2)
	v_sub_co_u32 v5, vcc_lo, v3, v5
	v_add3_u32 v6, v6, v9, v8
	s_delay_alu instid0(VALU_DEP_1) | instskip(SKIP_1) | instid1(VALU_DEP_1)
	v_sub_nc_u32_e32 v8, v4, v6
	s_wait_alu 0xfffd
	v_subrev_co_ci_u32_e64 v8, s2, s29, v8, vcc_lo
	v_add_co_u32 v9, s2, v2, 2
	s_wait_alu 0xf1ff
	v_add_co_ci_u32_e64 v10, s2, 0, v7, s2
	v_sub_co_u32 v11, s2, v5, s28
	v_sub_co_ci_u32_e32 v6, vcc_lo, v4, v6, vcc_lo
	s_wait_alu 0xf1ff
	v_subrev_co_ci_u32_e64 v8, s2, 0, v8, s2
	s_delay_alu instid0(VALU_DEP_3) | instskip(NEXT) | instid1(VALU_DEP_3)
	v_cmp_le_u32_e32 vcc_lo, s28, v11
	v_cmp_eq_u32_e64 s2, s29, v6
	s_wait_alu 0xfffd
	v_cndmask_b32_e64 v11, 0, -1, vcc_lo
	v_cmp_le_u32_e32 vcc_lo, s29, v8
	s_wait_alu 0xfffd
	v_cndmask_b32_e64 v12, 0, -1, vcc_lo
	v_cmp_le_u32_e32 vcc_lo, s28, v5
	;; [unrolled: 3-line block ×3, first 2 shown]
	s_wait_alu 0xfffd
	v_cndmask_b32_e64 v13, 0, -1, vcc_lo
	v_cmp_eq_u32_e32 vcc_lo, s29, v8
	s_wait_alu 0xf1ff
	s_delay_alu instid0(VALU_DEP_2)
	v_cndmask_b32_e64 v5, v13, v5, s2
	s_wait_alu 0xfffd
	v_cndmask_b32_e32 v8, v12, v11, vcc_lo
	v_add_co_u32 v11, vcc_lo, v2, 1
	s_wait_alu 0xfffd
	v_add_co_ci_u32_e32 v12, vcc_lo, 0, v7, vcc_lo
	s_delay_alu instid0(VALU_DEP_3) | instskip(SKIP_1) | instid1(VALU_DEP_2)
	v_cmp_ne_u32_e32 vcc_lo, 0, v8
	s_wait_alu 0xfffd
	v_cndmask_b32_e32 v6, v12, v10, vcc_lo
	v_cndmask_b32_e32 v8, v11, v9, vcc_lo
	v_cmp_ne_u32_e32 vcc_lo, 0, v5
	s_wait_alu 0xfffd
	s_delay_alu instid0(VALU_DEP_2)
	v_dual_cndmask_b32 v91, v7, v6 :: v_dual_cndmask_b32 v90, v2, v8
.LBB0_4:                                ;   in Loop: Header=BB0_2 Depth=1
	s_wait_alu 0xfffe
	s_and_not1_saveexec_b32 s2, s30
	s_cbranch_execz .LBB0_6
; %bb.5:                                ;   in Loop: Header=BB0_2 Depth=1
	v_cvt_f32_u32_e32 v2, s28
	s_sub_co_i32 s30, 0, s28
	v_mov_b32_e32 v91, v1
	s_delay_alu instid0(VALU_DEP_2) | instskip(NEXT) | instid1(TRANS32_DEP_1)
	v_rcp_iflag_f32_e32 v2, v2
	v_mul_f32_e32 v2, 0x4f7ffffe, v2
	s_delay_alu instid0(VALU_DEP_1) | instskip(SKIP_1) | instid1(VALU_DEP_1)
	v_cvt_u32_f32_e32 v2, v2
	s_wait_alu 0xfffe
	v_mul_lo_u32 v5, s30, v2
	s_delay_alu instid0(VALU_DEP_1) | instskip(NEXT) | instid1(VALU_DEP_1)
	v_mul_hi_u32 v5, v2, v5
	v_add_nc_u32_e32 v2, v2, v5
	s_delay_alu instid0(VALU_DEP_1) | instskip(NEXT) | instid1(VALU_DEP_1)
	v_mul_hi_u32 v2, v3, v2
	v_mul_lo_u32 v5, v2, s28
	v_add_nc_u32_e32 v6, 1, v2
	s_delay_alu instid0(VALU_DEP_2) | instskip(NEXT) | instid1(VALU_DEP_1)
	v_sub_nc_u32_e32 v5, v3, v5
	v_subrev_nc_u32_e32 v7, s28, v5
	v_cmp_le_u32_e32 vcc_lo, s28, v5
	s_wait_alu 0xfffd
	s_delay_alu instid0(VALU_DEP_2) | instskip(NEXT) | instid1(VALU_DEP_1)
	v_dual_cndmask_b32 v5, v5, v7 :: v_dual_cndmask_b32 v2, v2, v6
	v_cmp_le_u32_e32 vcc_lo, s28, v5
	s_delay_alu instid0(VALU_DEP_2) | instskip(SKIP_1) | instid1(VALU_DEP_1)
	v_add_nc_u32_e32 v6, 1, v2
	s_wait_alu 0xfffd
	v_cndmask_b32_e32 v90, v2, v6, vcc_lo
.LBB0_6:                                ;   in Loop: Header=BB0_2 Depth=1
	s_wait_alu 0xfffe
	s_or_b32 exec_lo, exec_lo, s2
	v_mul_lo_u32 v2, v91, s28
	s_delay_alu instid0(VALU_DEP_2)
	v_mul_lo_u32 v7, v90, s29
	s_load_b64 s[30:31], s[22:23], 0x0
	v_mad_co_u64_u32 v[5:6], null, v90, s28, 0
	s_load_b64 s[28:29], s[20:21], 0x0
	s_add_nc_u64 s[24:25], s[24:25], 1
	s_add_nc_u64 s[20:21], s[20:21], 8
	s_wait_alu 0xfffe
	v_cmp_ge_u64_e64 s2, s[24:25], s[10:11]
	s_add_nc_u64 s[22:23], s[22:23], 8
	s_add_nc_u64 s[26:27], s[26:27], 8
	v_add3_u32 v2, v6, v7, v2
	v_sub_co_u32 v3, vcc_lo, v3, v5
	s_wait_alu 0xfffd
	s_delay_alu instid0(VALU_DEP_2) | instskip(SKIP_2) | instid1(VALU_DEP_1)
	v_sub_co_ci_u32_e32 v2, vcc_lo, v4, v2, vcc_lo
	s_and_b32 vcc_lo, exec_lo, s2
	s_wait_kmcnt 0x0
	v_mul_lo_u32 v4, s30, v2
	v_mul_lo_u32 v5, s31, v3
	v_mad_co_u64_u32 v[20:21], null, s30, v3, v[20:21]
	v_mul_lo_u32 v2, s28, v2
	v_mul_lo_u32 v6, s29, v3
	v_mad_co_u64_u32 v[88:89], null, s28, v3, v[88:89]
	s_delay_alu instid0(VALU_DEP_4) | instskip(NEXT) | instid1(VALU_DEP_2)
	v_add3_u32 v21, v5, v21, v4
	v_add3_u32 v89, v6, v89, v2
	s_wait_alu 0xfffe
	s_cbranch_vccnz .LBB0_8
; %bb.7:                                ;   in Loop: Header=BB0_2 Depth=1
	v_dual_mov_b32 v3, v90 :: v_dual_mov_b32 v4, v91
	s_branch .LBB0_2
.LBB0_8:
	s_load_b64 s[0:1], s[0:1], 0x28
	s_lshl_b64 s[10:11], s[10:11], 3
	v_mul_hi_u32 v1, 0x7878788, v0
	s_wait_alu 0xfffe
	s_add_nc_u64 s[2:3], s[14:15], s[10:11]
	v_mov_b32_e32 v110, 0
	s_load_b64 s[2:3], s[2:3], 0x0
                                        ; implicit-def: $vgpr2_vgpr3
                                        ; implicit-def: $vgpr6_vgpr7
                                        ; implicit-def: $vgpr10_vgpr11
                                        ; implicit-def: $vgpr18_vgpr19
                                        ; implicit-def: $vgpr26_vgpr27
                                        ; implicit-def: $vgpr30_vgpr31
                                        ; implicit-def: $vgpr42_vgpr43
                                        ; implicit-def: $vgpr38_vgpr39
                                        ; implicit-def: $vgpr46_vgpr47
                                        ; implicit-def: $vgpr66_vgpr67
                                        ; implicit-def: $vgpr70_vgpr71
                                        ; implicit-def: $vgpr62_vgpr63
                                        ; implicit-def: $vgpr58_vgpr59
                                        ; implicit-def: $vgpr54_vgpr55
                                        ; implicit-def: $vgpr50_vgpr51
                                        ; implicit-def: $vgpr34_vgpr35
                                        ; implicit-def: $vgpr14_vgpr15
	s_delay_alu instid0(VALU_DEP_2) | instskip(NEXT) | instid1(VALU_DEP_1)
	v_mul_u32_u24_e32 v1, 34, v1
	v_sub_nc_u32_e32 v111, v0, v1
	s_wait_kmcnt 0x0
	v_cmp_gt_u64_e32 vcc_lo, s[0:1], v[90:91]
	s_and_saveexec_b32 s1, vcc_lo
	s_cbranch_execz .LBB0_12
; %bb.9:
	s_mov_b32 s14, exec_lo
                                        ; implicit-def: $vgpr12_vgpr13
                                        ; implicit-def: $vgpr32_vgpr33
                                        ; implicit-def: $vgpr48_vgpr49
                                        ; implicit-def: $vgpr52_vgpr53
                                        ; implicit-def: $vgpr56_vgpr57
                                        ; implicit-def: $vgpr60_vgpr61
                                        ; implicit-def: $vgpr68_vgpr69
                                        ; implicit-def: $vgpr64_vgpr65
                                        ; implicit-def: $vgpr44_vgpr45
                                        ; implicit-def: $vgpr36_vgpr37
                                        ; implicit-def: $vgpr40_vgpr41
                                        ; implicit-def: $vgpr28_vgpr29
                                        ; implicit-def: $vgpr24_vgpr25
                                        ; implicit-def: $vgpr16_vgpr17
                                        ; implicit-def: $vgpr8_vgpr9
                                        ; implicit-def: $vgpr4_vgpr5
                                        ; implicit-def: $vgpr0_vgpr1
	v_cmpx_gt_u32_e32 18, v111
	s_cbranch_execz .LBB0_11
; %bb.10:
	s_add_nc_u64 s[10:11], s[12:13], s[10:11]
	v_add_nc_u32_e32 v13, 18, v111
	s_load_b64 s[10:11], s[10:11], 0x0
	v_add_nc_u32_e32 v15, 36, v111
	v_mad_co_u64_u32 v[0:1], null, s18, v111, 0
	s_delay_alu instid0(VALU_DEP_3) | instskip(NEXT) | instid1(VALU_DEP_3)
	v_mad_co_u64_u32 v[2:3], null, s18, v13, 0
	v_mad_co_u64_u32 v[4:5], null, s18, v15, 0
	v_or_b32_e32 v24, 0x120, v111
	s_delay_alu instid0(VALU_DEP_3) | instskip(SKIP_3) | instid1(VALU_DEP_4)
	v_mad_co_u64_u32 v[10:11], null, s19, v111, v[1:2]
	v_add_nc_u32_e32 v16, 54, v111
	v_lshlrev_b64_e32 v[11:12], 4, v[20:21]
	v_add_nc_u32_e32 v21, 0x10e, v111
	v_mov_b32_e32 v1, v10
	s_wait_kmcnt 0x0
	v_mul_lo_u32 v14, s11, v90
	v_mul_lo_u32 v17, s10, v91
	v_mad_co_u64_u32 v[6:7], null, s10, v90, 0
	v_lshlrev_b64_e32 v[0:1], 4, v[0:1]
	v_mad_co_u64_u32 v[8:9], null, s18, v16, 0
	s_delay_alu instid0(VALU_DEP_3) | instskip(SKIP_2) | instid1(VALU_DEP_4)
	v_add3_u32 v7, v7, v17, v14
	v_mad_co_u64_u32 v[13:14], null, s19, v13, v[3:4]
	v_add_nc_u32_e32 v18, 0x48, v111
	v_mad_co_u64_u32 v[9:10], null, s19, v16, v[9:10]
	s_delay_alu instid0(VALU_DEP_4) | instskip(NEXT) | instid1(VALU_DEP_4)
	v_lshlrev_b64_e32 v[6:7], 4, v[6:7]
	v_dual_mov_b32 v3, v13 :: v_dual_add_nc_u32 v16, 0x5a, v111
	s_delay_alu instid0(VALU_DEP_2) | instskip(SKIP_2) | instid1(VALU_DEP_4)
	v_mad_co_u64_u32 v[14:15], null, s19, v15, v[5:6]
	v_add_co_u32 v5, s0, s4, v6
	s_wait_alu 0xf1ff
	v_add_co_ci_u32_e64 v6, s0, s5, v7, s0
	v_lshlrev_b64_e32 v[2:3], 4, v[2:3]
	s_delay_alu instid0(VALU_DEP_3) | instskip(SKIP_1) | instid1(VALU_DEP_3)
	v_add_co_u32 v22, s0, v5, v11
	s_wait_alu 0xf1ff
	v_add_co_ci_u32_e64 v23, s0, v6, v12, s0
	v_mad_co_u64_u32 v[6:7], null, s18, v18, 0
	s_delay_alu instid0(VALU_DEP_3) | instskip(SKIP_1) | instid1(VALU_DEP_3)
	v_add_co_u32 v0, s0, v22, v0
	s_wait_alu 0xf1ff
	v_add_co_ci_u32_e64 v1, s0, v23, v1, s0
	v_add_co_u32 v2, s0, v22, v2
	v_mov_b32_e32 v5, v14
	s_wait_alu 0xf1ff
	v_add_co_ci_u32_e64 v3, s0, v23, v3, s0
	s_clause 0x1
	global_load_b128 v[12:15], v[0:1], off
	global_load_b128 v[32:35], v[2:3], off
	v_lshlrev_b64_e32 v[0:1], 4, v[4:5]
	v_mad_co_u64_u32 v[3:4], null, s18, v16, 0
	v_mov_b32_e32 v2, v7
	s_delay_alu instid0(VALU_DEP_3) | instskip(SKIP_1) | instid1(VALU_DEP_4)
	v_add_co_u32 v0, s0, v22, v0
	s_wait_alu 0xf1ff
	v_add_co_ci_u32_e64 v1, s0, v23, v1, s0
	s_delay_alu instid0(VALU_DEP_3) | instskip(SKIP_3) | instid1(VALU_DEP_3)
	v_mad_co_u64_u32 v[10:11], null, s19, v18, v[2:3]
	v_mov_b32_e32 v2, v4
	v_lshlrev_b64_e32 v[4:5], 4, v[8:9]
	v_add_nc_u32_e32 v18, 0x7e, v111
	v_mad_co_u64_u32 v[8:9], null, s19, v16, v[2:3]
	v_add_nc_u32_e32 v11, 0x6c, v111
	v_mov_b32_e32 v7, v10
	v_add_co_u32 v16, s0, v22, v4
	s_wait_alu 0xf1ff
	v_add_co_ci_u32_e64 v17, s0, v23, v5, s0
	v_mov_b32_e32 v4, v8
	v_mad_co_u64_u32 v[9:10], null, s18, v11, 0
	v_lshlrev_b64_e32 v[5:6], 4, v[6:7]
	v_mad_co_u64_u32 v[7:8], null, s18, v18, 0
	s_delay_alu instid0(VALU_DEP_4) | instskip(NEXT) | instid1(VALU_DEP_4)
	v_lshlrev_b64_e32 v[3:4], 4, v[3:4]
	v_mov_b32_e32 v2, v10
	s_delay_alu instid0(VALU_DEP_4) | instskip(SKIP_2) | instid1(VALU_DEP_3)
	v_add_co_u32 v5, s0, v22, v5
	s_wait_alu 0xf1ff
	v_add_co_ci_u32_e64 v6, s0, v23, v6, s0
	v_mad_co_u64_u32 v[10:11], null, s19, v11, v[2:3]
	v_dual_mov_b32 v2, v8 :: v_dual_add_nc_u32 v11, 0x90, v111
	v_add_co_u32 v3, s0, v22, v3
	s_wait_alu 0xf1ff
	v_add_co_ci_u32_e64 v4, s0, v23, v4, s0
	s_clause 0x3
	global_load_b128 v[48:51], v[0:1], off
	global_load_b128 v[52:55], v[16:17], off
	;; [unrolled: 1-line block ×4, first 2 shown]
	v_add_nc_u32_e32 v17, 0xb4, v111
	v_mad_co_u64_u32 v[18:19], null, s19, v18, v[2:3]
	v_mad_co_u64_u32 v[19:20], null, s18, v11, 0
	v_add_nc_u32_e32 v16, 0xa2, v111
	v_lshlrev_b64_e32 v[0:1], 4, v[9:10]
	s_delay_alu instid0(VALU_DEP_4) | instskip(NEXT) | instid1(VALU_DEP_3)
	v_mov_b32_e32 v8, v18
	v_mad_co_u64_u32 v[3:4], null, s18, v16, 0
	v_mov_b32_e32 v2, v20
	s_delay_alu instid0(VALU_DEP_4) | instskip(NEXT) | instid1(VALU_DEP_4)
	v_add_co_u32 v0, s0, v22, v0
	v_lshlrev_b64_e32 v[5:6], 4, v[7:8]
	s_wait_alu 0xf1ff
	v_add_co_ci_u32_e64 v1, s0, v23, v1, s0
	v_mad_co_u64_u32 v[7:8], null, s19, v11, v[2:3]
	v_mov_b32_e32 v2, v4
	s_delay_alu instid0(VALU_DEP_4)
	v_add_co_u32 v4, s0, v22, v5
	v_mad_co_u64_u32 v[8:9], null, s18, v17, 0
	s_wait_alu 0xf1ff
	v_add_co_ci_u32_e64 v5, s0, v23, v6, s0
	v_mov_b32_e32 v20, v7
	v_mad_co_u64_u32 v[6:7], null, s19, v16, v[2:3]
	v_add_nc_u32_e32 v18, 0xc6, v111
	v_mov_b32_e32 v2, v9
	s_clause 0x1
	global_load_b128 v[68:71], v[0:1], off
	global_load_b128 v[64:67], v[4:5], off
	v_lshlrev_b64_e32 v[0:1], 4, v[19:20]
	v_add_nc_u32_e32 v20, 0xfc, v111
	v_mad_co_u64_u32 v[10:11], null, s18, v18, 0
	v_mov_b32_e32 v4, v6
	v_mad_co_u64_u32 v[16:17], null, s19, v17, v[2:3]
	v_add_co_u32 v0, s0, v22, v0
	s_delay_alu instid0(VALU_DEP_3) | instskip(SKIP_4) | instid1(VALU_DEP_3)
	v_lshlrev_b64_e32 v[3:4], 4, v[3:4]
	v_mov_b32_e32 v2, v11
	s_wait_alu 0xf1ff
	v_add_co_ci_u32_e64 v1, s0, v23, v1, s0
	v_dual_mov_b32 v9, v16 :: v_dual_add_nc_u32 v16, 0xd8, v111
	v_mad_co_u64_u32 v[5:6], null, s19, v18, v[2:3]
	v_add_co_u32 v2, s0, v22, v3
	s_delay_alu instid0(VALU_DEP_3) | instskip(NEXT) | instid1(VALU_DEP_4)
	v_lshlrev_b64_e32 v[6:7], 4, v[8:9]
	v_mad_co_u64_u32 v[8:9], null, s18, v16, 0
	s_wait_alu 0xf1ff
	v_add_co_ci_u32_e64 v3, s0, v23, v4, s0
	v_mov_b32_e32 v11, v5
	s_clause 0x1
	global_load_b128 v[44:47], v[0:1], off
	global_load_b128 v[36:39], v[2:3], off
	v_add_nc_u32_e32 v18, 0xea, v111
	v_mov_b32_e32 v2, v9
	v_lshlrev_b64_e32 v[3:4], 4, v[10:11]
	v_add_co_u32 v0, s0, v22, v6
	s_wait_alu 0xf1ff
	v_add_co_ci_u32_e64 v1, s0, v23, v7, s0
	v_mad_co_u64_u32 v[10:11], null, s18, v20, 0
	s_delay_alu instid0(VALU_DEP_4) | instskip(SKIP_4) | instid1(VALU_DEP_4)
	v_mad_co_u64_u32 v[5:6], null, s19, v16, v[2:3]
	v_mad_co_u64_u32 v[6:7], null, s18, v18, 0
	v_add_co_u32 v2, s0, v22, v3
	s_wait_alu 0xf1ff
	v_add_co_ci_u32_e64 v3, s0, v23, v4, s0
	v_mov_b32_e32 v9, v5
	s_delay_alu instid0(VALU_DEP_4)
	v_dual_mov_b32 v5, v11 :: v_dual_mov_b32 v4, v7
	v_mad_co_u64_u32 v[16:17], null, s18, v21, 0
	s_clause 0x1
	global_load_b128 v[40:43], v[0:1], off
	global_load_b128 v[28:31], v[2:3], off
	v_lshlrev_b64_e32 v[1:2], 4, v[8:9]
	v_mad_co_u64_u32 v[18:19], null, s19, v18, v[4:5]
	v_mad_co_u64_u32 v[4:5], null, s19, v20, v[5:6]
	;; [unrolled: 1-line block ×3, first 2 shown]
	s_delay_alu instid0(VALU_DEP_3) | instskip(NEXT) | instid1(VALU_DEP_3)
	v_dual_mov_b32 v0, v17 :: v_dual_mov_b32 v7, v18
	v_mov_b32_e32 v11, v4
	s_delay_alu instid0(VALU_DEP_2) | instskip(NEXT) | instid1(VALU_DEP_4)
	v_mad_co_u64_u32 v[3:4], null, s19, v21, v[0:1]
	v_mov_b32_e32 v0, v20
	v_add_co_u32 v1, s0, v22, v1
	v_lshlrev_b64_e32 v[4:5], 4, v[6:7]
	s_wait_alu 0xf1ff
	v_add_co_ci_u32_e64 v2, s0, v23, v2, s0
	v_mov_b32_e32 v17, v3
	v_mad_co_u64_u32 v[6:7], null, s19, v24, v[0:1]
	v_lshlrev_b64_e32 v[7:8], 4, v[10:11]
	v_add_co_u32 v3, s0, v22, v4
	s_wait_alu 0xf1ff
	v_add_co_ci_u32_e64 v4, s0, v23, v5, s0
	v_lshlrev_b64_e32 v[9:10], 4, v[16:17]
	v_mov_b32_e32 v20, v6
	v_add_co_u32 v5, s0, v22, v7
	s_wait_alu 0xf1ff
	v_add_co_ci_u32_e64 v6, s0, v23, v8, s0
	s_delay_alu instid0(VALU_DEP_3) | instskip(SKIP_3) | instid1(VALU_DEP_3)
	v_lshlrev_b64_e32 v[7:8], 4, v[19:20]
	v_add_co_u32 v20, s0, v22, v9
	s_wait_alu 0xf1ff
	v_add_co_ci_u32_e64 v21, s0, v23, v10, s0
	v_add_co_u32 v22, s0, v22, v7
	s_wait_alu 0xf1ff
	v_add_co_ci_u32_e64 v23, s0, v23, v8, s0
	s_clause 0x4
	global_load_b128 v[24:27], v[1:2], off
	global_load_b128 v[16:19], v[3:4], off
	;; [unrolled: 1-line block ×5, first 2 shown]
.LBB0_11:
	s_or_b32 exec_lo, exec_lo, s14
	v_mov_b32_e32 v110, v111
.LBB0_12:
	s_wait_alu 0xfffe
	s_or_b32 exec_lo, exec_lo, s1
	s_wait_loadcnt 0x0
	v_add_f64_e32 v[92:93], v[0:1], v[32:33]
	s_mov_b32 s4, 0x7faef3
	s_mov_b32 s5, 0xbfef7484
	v_add_f64_e32 v[85:86], v[4:5], v[48:49]
	v_add_f64_e64 v[98:99], v[34:35], -v[2:3]
	s_mov_b32 s46, 0xacd6c6b4
	s_mov_b32 s10, 0x370991
	;; [unrolled: 1-line block ×6, first 2 shown]
	v_add_f64_e64 v[94:95], v[50:51], -v[6:7]
	v_add_f64_e32 v[81:82], v[8:9], v[52:53]
	s_mov_b32 s24, 0x5d8e7cdc
	s_mov_b32 s12, 0x910ea3b9
	;; [unrolled: 1-line block ×5, first 2 shown]
	s_wait_alu 0xfffe
	s_mov_b32 s20, s24
	v_add_f64_e64 v[106:107], v[54:55], -v[10:11]
	v_add_f64_e32 v[77:78], v[16:17], v[56:57]
	s_mov_b32 s38, 0x4363dd80
	s_mov_b32 s18, 0x75d4884
	;; [unrolled: 1-line block ×5, first 2 shown]
	s_wait_alu 0xfffe
	s_mov_b32 s22, s38
	v_add_f64_e64 v[104:105], v[58:59], -v[18:19]
	v_add_f64_e32 v[79:80], v[24:25], v[60:61]
	s_mov_b32 s44, 0x2a9d6da3
	s_mov_b32 s26, 0x6ed5f1bb
	;; [unrolled: 1-line block ×6, first 2 shown]
	v_add_f64_e64 v[108:109], v[62:63], -v[26:27]
	s_mov_b32 s42, 0x6c9a05f6
	s_mov_b32 s28, 0x2b2883cd
	v_mul_f64_e32 v[20:21], s[4:5], v[92:93]
	s_mov_b32 s43, 0x3fe9895b
	s_mov_b32 s37, 0xbfe9895b
	v_mul_f64_e32 v[22:23], s[10:11], v[85:86]
	s_mov_b32 s29, 0x3fdc86fa
	s_mov_b32 s36, s42
	;; [unrolled: 1-line block ×8, first 2 shown]
	v_mul_f64_e32 v[75:76], s[12:13], v[81:82]
	s_mov_b32 s56, 0x923c349f
	s_mov_b32 s48, 0x3259b75e
	;; [unrolled: 1-line block ×7, first 2 shown]
	v_mul_f64_e32 v[96:97], s[18:19], v[77:78]
	s_mov_b32 s53, 0xbfefdd0d
	s_mov_b32 s59, 0x3fefdd0d
	;; [unrolled: 1-line block ×3, first 2 shown]
	v_mul_hi_u32 v87, 0x24924925, v72
	v_cmp_gt_u32_e64 s0, 18, v111
	v_fma_f64 v[73:74], v[98:99], s[46:47], v[20:21]
	v_fma_f64 v[20:21], v[98:99], s[14:15], v[20:21]
	;; [unrolled: 1-line block ×6, first 2 shown]
	v_add_f64_e32 v[75:76], v[28:29], v[68:69]
	v_add_f64_e32 v[73:74], v[12:13], v[73:74]
	;; [unrolled: 1-line block ×3, first 2 shown]
	s_delay_alu instid0(VALU_DEP_2) | instskip(NEXT) | instid1(VALU_DEP_2)
	v_add_f64_e32 v[73:74], v[83:84], v[73:74]
	v_add_f64_e32 v[20:21], v[22:23], v[20:21]
	v_mul_f64_e32 v[22:23], s[26:27], v[79:80]
	v_fma_f64 v[83:84], v[104:105], s[44:45], v[96:97]
	s_wait_alu 0xfffe
	v_fma_f64 v[96:97], v[104:105], s[30:31], v[96:97]
	v_add_f64_e32 v[112:113], v[100:101], v[73:74]
	v_add_f64_e32 v[20:21], v[102:103], v[20:21]
	v_add_f64_e64 v[100:101], v[70:71], -v[30:31]
	v_add_f64_e32 v[73:74], v[40:41], v[64:65]
	v_mul_f64_e32 v[102:103], s[28:29], v[75:76]
	v_fma_f64 v[114:115], v[108:109], s[42:43], v[22:23]
	v_fma_f64 v[22:23], v[108:109], s[36:37], v[22:23]
	v_add_f64_e32 v[112:113], v[83:84], v[112:113]
	v_add_f64_e32 v[20:21], v[96:97], v[20:21]
	v_add_f64_e64 v[96:97], v[66:67], -v[42:43]
	v_add_f64_e32 v[83:84], v[36:37], v[44:45]
	v_mul_f64_e32 v[116:117], s[34:35], v[73:74]
	v_fma_f64 v[118:119], v[100:101], s[54:55], v[102:103]
	v_fma_f64 v[120:121], v[100:101], s[40:41], v[102:103]
	v_add_f64_e64 v[102:103], v[46:47], -v[38:39]
	v_add_f64_e32 v[112:113], v[114:115], v[112:113]
	v_add_f64_e32 v[20:21], v[22:23], v[20:21]
	v_mul_f64_e32 v[22:23], s[48:49], v[83:84]
	v_fma_f64 v[114:115], v[96:97], s[56:57], v[116:117]
	v_fma_f64 v[116:117], v[96:97], s[50:51], v[116:117]
	v_add_f64_e32 v[112:113], v[118:119], v[112:113]
	v_add_f64_e32 v[20:21], v[120:121], v[20:21]
	v_fma_f64 v[118:119], v[102:103], s[52:53], v[22:23]
	v_fma_f64 v[22:23], v[102:103], s[58:59], v[22:23]
	s_delay_alu instid0(VALU_DEP_4) | instskip(NEXT) | instid1(VALU_DEP_4)
	v_add_f64_e32 v[112:113], v[114:115], v[112:113]
	v_add_f64_e32 v[114:115], v[116:117], v[20:21]
	v_sub_nc_u32_e32 v116, v72, v87
	s_delay_alu instid0(VALU_DEP_3) | instskip(NEXT) | instid1(VALU_DEP_3)
	v_add_f64_e32 v[20:21], v[118:119], v[112:113]
	v_add_f64_e32 v[22:23], v[22:23], v[114:115]
	s_delay_alu instid0(VALU_DEP_3) | instskip(NEXT) | instid1(VALU_DEP_1)
	v_lshrrev_b32_e32 v112, 1, v116
	v_add_nc_u32_e32 v87, v112, v87
	s_delay_alu instid0(VALU_DEP_1) | instskip(NEXT) | instid1(VALU_DEP_1)
	v_lshrrev_b32_e32 v87, 2, v87
	v_mul_lo_u32 v87, v87, 7
	s_delay_alu instid0(VALU_DEP_1) | instskip(NEXT) | instid1(VALU_DEP_1)
	v_sub_nc_u32_e32 v72, v72, v87
	v_mul_u32_u24_e32 v72, 0x132, v72
	s_delay_alu instid0(VALU_DEP_1)
	v_lshlrev_b32_e32 v112, 3, v72
	s_and_saveexec_b32 s1, s0
	s_cbranch_execz .LBB0_14
; %bb.13:
	v_add_f64_e32 v[113:114], v[32:33], v[12:13]
	v_mul_f64_e32 v[115:116], s[22:23], v[98:99]
	v_mul_f64_e32 v[117:118], s[36:37], v[98:99]
	;; [unrolled: 1-line block ×23, first 2 shown]
	v_add_f64_e32 v[113:114], v[48:49], v[113:114]
	v_fma_f64 v[139:140], v[92:93], s[12:13], v[115:116]
	v_fma_f64 v[115:116], v[92:93], s[12:13], -v[115:116]
	v_fma_f64 v[141:142], v[92:93], s[26:27], v[117:118]
	v_fma_f64 v[117:118], v[92:93], s[26:27], -v[117:118]
	;; [unrolled: 2-line block ×3, first 2 shown]
	v_fma_f64 v[145:146], v[92:93], s[48:49], -v[121:122]
	v_fma_f64 v[121:122], v[92:93], s[48:49], v[121:122]
	v_fma_f64 v[147:148], v[92:93], s[28:29], v[123:124]
	v_fma_f64 v[123:124], v[92:93], s[28:29], -v[123:124]
	v_fma_f64 v[149:150], v[92:93], s[18:19], v[125:126]
	v_fma_f64 v[151:152], v[92:93], s[10:11], -v[98:99]
	v_fma_f64 v[125:126], v[92:93], s[18:19], -v[125:126]
	v_fma_f64 v[92:93], v[92:93], s[10:11], v[98:99]
	v_mul_f64_e32 v[98:99], s[52:53], v[106:107]
	v_mul_f64_e32 v[106:107], s[54:55], v[106:107]
	v_fma_f64 v[163:164], v[85:86], s[28:29], v[127:128]
	v_fma_f64 v[127:128], v[85:86], s[28:29], -v[127:128]
	v_fma_f64 v[165:166], v[85:86], s[34:35], v[129:130]
	v_fma_f64 v[129:130], v[85:86], s[34:35], -v[129:130]
	;; [unrolled: 2-line block ×10, first 2 shown]
	v_fma_f64 v[193:194], v[81:82], s[4:5], v[159:160]
	v_add_f64_e32 v[113:114], v[52:53], v[113:114]
	v_add_f64_e32 v[94:95], v[12:13], v[139:140]
	;; [unrolled: 1-line block ×15, first 2 shown]
	v_mul_f64_e32 v[92:93], s[42:43], v[104:105]
	v_mul_f64_e32 v[151:152], s[22:23], v[104:105]
	;; [unrolled: 1-line block ×3, first 2 shown]
	v_fma_f64 v[185:186], v[81:82], s[48:49], v[98:99]
	v_fma_f64 v[98:99], v[81:82], s[48:49], -v[98:99]
	v_fma_f64 v[159:160], v[81:82], s[4:5], -v[159:160]
	v_fma_f64 v[195:196], v[81:82], s[26:27], v[161:162]
	v_fma_f64 v[161:162], v[81:82], s[26:27], -v[161:162]
	v_fma_f64 v[197:198], v[81:82], s[28:29], v[106:107]
	v_fma_f64 v[81:82], v[81:82], s[28:29], -v[106:107]
	v_add_f64_e32 v[113:114], v[56:57], v[113:114]
	v_add_f64_e32 v[94:95], v[163:164], v[94:95]
	;; [unrolled: 1-line block ×15, first 2 shown]
	v_mul_f64_e32 v[135:136], s[24:25], v[108:109]
	v_mul_f64_e32 v[137:138], s[58:59], v[108:109]
	;; [unrolled: 1-line block ×7, first 2 shown]
	v_fma_f64 v[147:148], v[77:78], s[26:27], v[92:93]
	v_fma_f64 v[92:93], v[77:78], s[26:27], -v[92:93]
	v_fma_f64 v[149:150], v[77:78], s[12:13], v[151:152]
	v_fma_f64 v[151:152], v[77:78], s[12:13], -v[151:152]
	v_fma_f64 v[163:164], v[77:78], s[28:29], v[177:178]
	v_fma_f64 v[165:166], v[77:78], s[28:29], -v[177:178]
	v_fma_f64 v[167:168], v[77:78], s[10:11], v[179:180]
	v_fma_f64 v[169:170], v[77:78], s[10:11], -v[179:180]
	v_fma_f64 v[171:172], v[77:78], s[34:35], v[181:182]
	v_fma_f64 v[173:174], v[77:78], s[34:35], -v[181:182]
	v_fma_f64 v[175:176], v[77:78], s[4:5], v[183:184]
	v_fma_f64 v[177:178], v[77:78], s[4:5], -v[183:184]
	v_fma_f64 v[179:180], v[77:78], s[48:49], v[104:105]
	v_fma_f64 v[77:78], v[77:78], s[48:49], -v[104:105]
	v_add_f64_e32 v[113:114], v[60:61], v[113:114]
	v_add_f64_e32 v[94:95], v[185:186], v[94:95]
	;; [unrolled: 1-line block ×15, first 2 shown]
	v_mul_f64_e32 v[125:126], s[14:15], v[100:101]
	v_mul_f64_e32 v[131:132], s[44:45], v[100:101]
	v_mul_f64_e32 v[133:134], s[58:59], v[100:101]
	v_mul_f64_e32 v[153:154], s[22:23], v[100:101]
	v_mul_f64_e32 v[155:156], s[24:25], v[100:101]
	v_mul_f64_e32 v[157:158], s[56:57], v[100:101]
	v_mul_f64_e32 v[100:101], s[36:37], v[100:101]
	v_fma_f64 v[159:160], v[79:80], s[10:11], v[135:136]
	v_fma_f64 v[135:136], v[79:80], s[10:11], -v[135:136]
	v_fma_f64 v[161:162], v[79:80], s[48:49], v[137:138]
	v_fma_f64 v[137:138], v[79:80], s[48:49], -v[137:138]
	v_fma_f64 v[181:182], v[79:80], s[4:5], v[139:140]
	v_fma_f64 v[139:140], v[79:80], s[4:5], -v[139:140]
	v_fma_f64 v[183:184], v[79:80], s[28:29], v[141:142]
	v_fma_f64 v[141:142], v[79:80], s[28:29], -v[141:142]
	v_fma_f64 v[185:186], v[79:80], s[18:19], v[143:144]
	v_fma_f64 v[143:144], v[79:80], s[18:19], -v[143:144]
	v_fma_f64 v[187:188], v[79:80], s[12:13], v[145:146]
	v_fma_f64 v[145:146], v[79:80], s[12:13], -v[145:146]
	v_fma_f64 v[189:190], v[79:80], s[34:35], v[108:109]
	v_fma_f64 v[79:80], v[79:80], s[34:35], -v[108:109]
	v_add_f64_e32 v[113:114], v[68:69], v[113:114]
	v_add_f64_e32 v[94:95], v[147:148], v[94:95]
	;; [unrolled: 1-line block ×15, first 2 shown]
	v_mul_f64_e32 v[127:128], s[14:15], v[96:97]
	v_mul_f64_e32 v[129:130], s[24:25], v[96:97]
	;; [unrolled: 1-line block ×5, first 2 shown]
	v_fma_f64 v[163:164], v[75:76], s[4:5], v[125:126]
	v_fma_f64 v[125:126], v[75:76], s[4:5], -v[125:126]
	v_fma_f64 v[165:166], v[75:76], s[18:19], v[131:132]
	v_fma_f64 v[131:132], v[75:76], s[18:19], -v[131:132]
	;; [unrolled: 2-line block ×7, first 2 shown]
	v_add_f64_e32 v[113:114], v[64:65], v[113:114]
	v_add_f64_e32 v[94:95], v[159:160], v[94:95]
	;; [unrolled: 1-line block ×15, first 2 shown]
	v_mul_f64_e32 v[123:124], s[40:41], v[102:103]
	v_mul_f64_e32 v[135:136], s[36:37], v[102:103]
	;; [unrolled: 1-line block ×5, first 2 shown]
	v_fma_f64 v[145:146], v[73:74], s[4:5], v[127:128]
	v_fma_f64 v[127:128], v[73:74], s[4:5], -v[127:128]
	v_fma_f64 v[159:160], v[73:74], s[10:11], v[129:130]
	v_fma_f64 v[129:130], v[73:74], s[10:11], -v[129:130]
	;; [unrolled: 2-line block ×5, first 2 shown]
	v_add_f64_e32 v[113:114], v[44:45], v[113:114]
	v_add_f64_e32 v[94:95], v[163:164], v[94:95]
	v_add_f64_e32 v[92:93], v[125:126], v[92:93]
	v_add_f64_e32 v[12:13], v[175:176], v[12:13]
	v_fma_f64 v[125:126], v[83:84], s[26:27], v[135:136]
	v_add_f64_e32 v[113:114], v[36:37], v[113:114]
	s_delay_alu instid0(VALU_DEP_1) | instskip(NEXT) | instid1(VALU_DEP_1)
	v_add_f64_e32 v[113:114], v[40:41], v[113:114]
	v_add_f64_e32 v[113:114], v[28:29], v[113:114]
	s_delay_alu instid0(VALU_DEP_1) | instskip(SKIP_2) | instid1(VALU_DEP_3)
	v_add_f64_e32 v[85:86], v[24:25], v[113:114]
	v_mul_f64_e32 v[113:114], s[30:31], v[96:97]
	v_mul_f64_e32 v[96:97], s[22:23], v[96:97]
	v_add_f64_e32 v[81:82], v[16:17], v[85:86]
	v_mul_f64_e32 v[85:86], s[50:51], v[102:103]
	v_mul_f64_e32 v[102:103], s[14:15], v[102:103]
	v_fma_f64 v[143:144], v[73:74], s[18:19], v[113:114]
	v_fma_f64 v[113:114], v[73:74], s[18:19], -v[113:114]
	v_fma_f64 v[181:182], v[73:74], s[12:13], v[96:97]
	v_fma_f64 v[72:73], v[73:74], s[12:13], -v[96:97]
	v_add_f64_e32 v[96:97], v[165:166], v[98:99]
	v_add_f64_e32 v[98:99], v[131:132], v[100:101]
	;; [unrolled: 1-line block ×11, first 2 shown]
	v_fma_f64 v[121:122], v[83:84], s[28:29], v[123:124]
	v_fma_f64 v[123:124], v[83:84], s[28:29], -v[123:124]
	v_fma_f64 v[131:132], v[83:84], s[26:27], -v[135:136]
	v_fma_f64 v[133:134], v[83:84], s[18:19], v[137:138]
	v_fma_f64 v[135:136], v[83:84], s[18:19], -v[137:138]
	v_fma_f64 v[137:138], v[83:84], s[12:13], v[139:140]
	v_fma_f64 v[139:140], v[83:84], s[12:13], -v[139:140]
	v_fma_f64 v[153:154], v[83:84], s[10:11], v[141:142]
	v_fma_f64 v[141:142], v[83:84], s[10:11], -v[141:142]
	v_add_f64_e32 v[78:79], v[8:9], v[81:82]
	v_fma_f64 v[80:81], v[83:84], s[34:35], v[85:86]
	v_fma_f64 v[85:86], v[83:84], s[34:35], -v[85:86]
	v_fma_f64 v[155:156], v[83:84], s[4:5], v[102:103]
	v_fma_f64 v[82:83], v[83:84], s[4:5], -v[102:103]
	v_add_f64_e32 v[94:95], v[143:144], v[94:95]
	v_add_f64_e32 v[92:93], v[113:114], v[92:93]
	;; [unrolled: 1-line block ×29, first 2 shown]
	v_mul_u32_u24_e32 v82, 0x88, v111
	s_delay_alu instid0(VALU_DEP_1)
	v_add3_u32 v82, 0, v82, v112
	v_add_f64_e32 v[76:77], v[0:1], v[76:77]
	ds_store_2addr_b64 v82, v[96:97], v[94:95] offset0:4 offset1:5
	ds_store_2addr_b64 v82, v[86:87], v[80:81] offset0:6 offset1:7
	;; [unrolled: 1-line block ×7, first 2 shown]
	ds_store_2addr_b64 v82, v[76:77], v[72:73] offset1:1
	ds_store_b64 v82, v[12:13] offset:128
.LBB0_14:
	s_wait_alu 0xfffe
	s_or_b32 exec_lo, exec_lo, s1
	v_lshlrev_b32_e32 v92, 3, v111
	global_wb scope:SCOPE_SE
	s_wait_dscnt 0x0
	s_barrier_signal -1
	s_barrier_wait -1
	global_inv scope:SCOPE_SE
	v_add_nc_u32_e32 v109, 0, v92
	v_add3_u32 v107, 0, v112, v92
	v_cmp_gt_u32_e64 s1, 17, v111
	s_delay_alu instid0(VALU_DEP_3)
	v_add_nc_u32_e32 v108, v109, v112
	ds_load_2addr_b64 v[76:79], v108 offset0:102 offset1:153
	ds_load_2addr_b64 v[80:83], v108 offset0:34 offset1:68
	;; [unrolled: 1-line block ×3, first 2 shown]
	ds_load_b64 v[95:96], v107
	ds_load_b64 v[93:94], v108 offset:2040
	s_and_saveexec_b32 s4, s1
	s_cbranch_execz .LBB0_16
; %bb.15:
	v_add_nc_u32_e32 v12, 0x400, v108
	ds_load_2addr_b64 v[20:23], v12 offset0:8 offset1:161
.LBB0_16:
	s_wait_alu 0xfffe
	s_or_b32 exec_lo, exec_lo, s4
	v_add_f64_e64 v[105:106], v[32:33], -v[0:1]
	s_mov_b32 s14, 0xacd6c6b4
	s_mov_b32 s15, 0xbfc7851a
	v_add_f64_e64 v[103:104], v[48:49], -v[4:5]
	v_add_f64_e32 v[101:102], v[2:3], v[34:35]
	s_mov_b32 s4, 0x7faef3
	s_mov_b32 s20, 0x5d8e7cdc
	;; [unrolled: 1-line block ×4, first 2 shown]
	v_add_f64_e32 v[97:98], v[6:7], v[50:51]
	v_add_f64_e64 v[99:100], v[52:53], -v[8:9]
	s_mov_b32 s24, 0x4363dd80
	s_mov_b32 s25, 0xbfe0d888
	v_add_f64_e32 v[52:53], v[10:11], v[54:55]
	v_add_f64_e64 v[56:57], v[56:57], -v[16:17]
	s_mov_b32 s26, 0x2a9d6da3
	s_mov_b32 s27, 0x3fe58eea
	;; [unrolled: 4-line block ×4, first 2 shown]
	s_mov_b32 s23, 0xbfe348c8
	s_mov_b32 s37, 0x3feca52d
	s_mov_b32 s38, 0x923c349f
	s_mov_b32 s39, 0xbfeec746
	s_mov_b32 s44, 0xeb564b22
	s_mov_b32 s45, 0x3fefdd0d
	s_mov_b32 s40, 0x3259b75e
	s_mov_b32 s41, 0x3fb79ee6
	global_wb scope:SCOPE_SE
	s_wait_dscnt 0x0
	s_barrier_signal -1
	s_barrier_wait -1
	global_inv scope:SCOPE_SE
	s_wait_alu 0xfffe
	v_mul_f64_e32 v[0:1], s[14:15], v[105:106]
	v_mul_f64_e32 v[4:5], s[20:21], v[103:104]
	;; [unrolled: 1-line block ×4, first 2 shown]
	s_delay_alu instid0(VALU_DEP_4)
	v_fma_f64 v[8:9], v[101:102], s[4:5], v[0:1]
	v_fma_f64 v[0:1], v[101:102], s[4:5], -v[0:1]
	v_fma_f64 v[16:17], v[97:98], s[10:11], v[4:5]
	v_fma_f64 v[4:5], v[97:98], s[10:11], -v[4:5]
	;; [unrolled: 2-line block ×4, first 2 shown]
	v_add_f64_e32 v[8:9], v[14:15], v[8:9]
	v_add_f64_e32 v[0:1], v[14:15], v[0:1]
	s_delay_alu instid0(VALU_DEP_2) | instskip(NEXT) | instid1(VALU_DEP_2)
	v_add_f64_e32 v[8:9], v[16:17], v[8:9]
	v_add_f64_e32 v[0:1], v[4:5], v[0:1]
	v_mul_f64_e32 v[4:5], s[30:31], v[48:49]
	v_add_f64_e64 v[16:17], v[64:65], -v[40:41]
	v_mul_f64_e32 v[40:41], s[36:37], v[28:29]
	v_add_f64_e32 v[8:9], v[84:85], v[8:9]
	v_add_f64_e32 v[0:1], v[12:13], v[0:1]
	;; [unrolled: 1-line block ×3, first 2 shown]
	v_fma_f64 v[64:65], v[24:25], s[22:23], v[4:5]
	v_fma_f64 v[84:85], v[24:25], s[22:23], -v[4:5]
	v_add_f64_e32 v[4:5], v[42:43], v[66:67]
	v_add_f64_e32 v[68:69], v[68:69], v[8:9]
	;; [unrolled: 1-line block ×3, first 2 shown]
	v_add_f64_e64 v[8:9], v[44:45], -v[36:37]
	v_mul_f64_e32 v[36:37], s[38:39], v[16:17]
	v_fma_f64 v[44:45], v[12:13], s[28:29], v[40:41]
	v_fma_f64 v[40:41], v[12:13], s[28:29], -v[40:41]
	v_add_f64_e32 v[60:61], v[64:65], v[68:69]
	v_add_f64_e32 v[64:65], v[84:85], v[0:1]
	v_add_f64_e32 v[0:1], v[38:39], v[46:47]
	v_mul_f64_e32 v[68:69], s[44:45], v[8:9]
	v_fma_f64 v[84:85], v[4:5], s[34:35], v[36:37]
	v_fma_f64 v[36:37], v[4:5], s[34:35], -v[36:37]
	v_add_f64_e32 v[44:45], v[44:45], v[60:61]
	v_add_f64_e32 v[40:41], v[40:41], v[64:65]
	v_fma_f64 v[60:61], v[0:1], s[40:41], v[68:69]
	v_fma_f64 v[64:65], v[0:1], s[40:41], -v[68:69]
	s_delay_alu instid0(VALU_DEP_4) | instskip(NEXT) | instid1(VALU_DEP_4)
	v_add_f64_e32 v[44:45], v[84:85], v[44:45]
	v_add_f64_e32 v[36:37], v[36:37], v[40:41]
	s_delay_alu instid0(VALU_DEP_2) | instskip(NEXT) | instid1(VALU_DEP_2)
	v_add_f64_e32 v[84:85], v[60:61], v[44:45]
	v_add_f64_e32 v[86:87], v[64:65], v[36:37]
	s_and_saveexec_b32 s33, s0
	s_cbranch_execz .LBB0_18
; %bb.17:
	v_add_f64_e32 v[34:35], v[34:35], v[14:15]
	s_mov_b32 s43, 0xbfd71e95
	s_mov_b32 s42, s20
	;; [unrolled: 1-line block ×6, first 2 shown]
	v_mul_f64_e32 v[40:41], s[30:31], v[105:106]
	v_mul_f64_e32 v[44:45], s[24:25], v[105:106]
	;; [unrolled: 1-line block ×3, first 2 shown]
	s_mov_b32 s53, 0xbfeca52d
	s_mov_b32 s52, s36
	;; [unrolled: 1-line block ×3, first 2 shown]
	s_wait_alu 0xfffe
	v_mul_f64_e32 v[60:61], s[52:53], v[105:106]
	s_mov_b32 s54, s24
	s_mov_b32 s51, 0x3feec746
	;; [unrolled: 1-line block ×3, first 2 shown]
	v_mul_f64_e32 v[64:65], s[14:15], v[103:104]
	v_mul_f64_e32 v[68:69], s[48:49], v[103:104]
	s_mov_b32 s57, 0x3fc7851a
	s_mov_b32 s56, s14
	v_mul_f64_e32 v[127:128], s[52:53], v[99:100]
	s_wait_alu 0xfffe
	v_mul_f64_e32 v[129:130], s[56:57], v[99:100]
	v_mul_f64_e32 v[131:132], s[50:51], v[99:100]
	;; [unrolled: 1-line block ×3, first 2 shown]
	s_mov_b32 s57, 0x3fe9895b
	s_mov_b32 s56, s30
	v_mul_f64_e32 v[149:150], s[46:47], v[56:57]
	v_mul_f64_e32 v[151:152], s[50:51], v[56:57]
	;; [unrolled: 1-line block ×3, first 2 shown]
	v_add_f64_e32 v[34:35], v[50:51], v[34:35]
	v_mul_f64_e32 v[50:51], s[42:43], v[105:106]
	v_fma_f64 v[115:116], v[101:102], s[22:23], v[40:41]
	v_fma_f64 v[40:41], v[101:102], s[22:23], -v[40:41]
	v_fma_f64 v[117:118], v[101:102], s[12:13], v[44:45]
	v_fma_f64 v[44:45], v[101:102], s[12:13], -v[44:45]
	;; [unrolled: 2-line block ×3, first 2 shown]
	v_fma_f64 v[125:126], v[101:102], s[28:29], -v[60:61]
	v_fma_f64 v[137:138], v[97:98], s[4:5], v[64:65]
	v_fma_f64 v[64:65], v[97:98], s[4:5], -v[64:65]
	v_fma_f64 v[141:142], v[97:98], s[18:19], v[68:69]
	v_fma_f64 v[68:69], v[97:98], s[18:19], -v[68:69]
	v_fma_f64 v[159:160], v[52:53], s[28:29], v[127:128]
	v_fma_f64 v[127:128], v[52:53], s[28:29], -v[127:128]
	v_fma_f64 v[161:162], v[52:53], s[4:5], v[129:130]
	v_fma_f64 v[129:130], v[52:53], s[4:5], -v[129:130]
	v_fma_f64 v[163:164], v[52:53], s[34:35], v[131:132]
	v_fma_f64 v[131:132], v[52:53], s[34:35], -v[131:132]
	v_fma_f64 v[165:166], v[52:53], s[10:11], v[133:134]
	v_fma_f64 v[133:134], v[52:53], s[10:11], -v[133:134]
	v_add_f64_e32 v[34:35], v[54:55], v[34:35]
	v_mul_f64_e32 v[54:55], s[48:49], v[105:106]
	v_fma_f64 v[119:120], v[101:102], s[10:11], v[50:51]
	v_fma_f64 v[50:51], v[101:102], s[10:11], -v[50:51]
	v_add_f64_e32 v[40:41], v[14:15], v[40:41]
	v_add_f64_e32 v[44:45], v[14:15], v[44:45]
	;; [unrolled: 1-line block ×4, first 2 shown]
	v_mul_f64_e32 v[58:59], s[46:47], v[105:106]
	v_mul_f64_e32 v[105:106], s[54:55], v[103:104]
	v_fma_f64 v[121:122], v[101:102], s[18:19], v[54:55]
	v_fma_f64 v[54:55], v[101:102], s[18:19], -v[54:55]
	v_add_f64_e32 v[34:35], v[62:63], v[34:35]
	v_mul_f64_e32 v[62:63], s[30:31], v[103:104]
	v_fma_f64 v[123:124], v[101:102], s[40:41], v[58:59]
	v_fma_f64 v[58:59], v[101:102], s[40:41], -v[58:59]
	v_fma_f64 v[145:146], v[97:98], s[12:13], v[105:106]
	v_fma_f64 v[105:106], v[97:98], s[12:13], -v[105:106]
	v_add_f64_e32 v[54:55], v[14:15], v[54:55]
	v_add_f64_e32 v[34:35], v[70:71], v[34:35]
	v_mul_f64_e32 v[70:71], s[46:47], v[103:104]
	v_fma_f64 v[135:136], v[97:98], s[22:23], v[62:63]
	v_fma_f64 v[62:63], v[97:98], s[22:23], -v[62:63]
	v_add_f64_e32 v[58:59], v[14:15], v[58:59]
	v_add_f64_e32 v[36:37], v[105:106], v[36:37]
	;; [unrolled: 1-line block ×3, first 2 shown]
	v_mul_f64_e32 v[66:67], s[36:37], v[103:104]
	v_mul_f64_e32 v[103:104], s[50:51], v[103:104]
	v_fma_f64 v[143:144], v[97:98], s[40:41], v[70:71]
	v_fma_f64 v[70:71], v[97:98], s[40:41], -v[70:71]
	v_add_f64_e32 v[58:59], v[64:65], v[58:59]
	v_mul_f64_e32 v[64:65], s[26:27], v[48:49]
	v_add_f64_e32 v[34:35], v[46:47], v[34:35]
	v_fma_f64 v[46:47], v[101:102], s[28:29], v[60:61]
	v_mul_f64_e32 v[60:61], s[30:31], v[99:100]
	v_mul_f64_e32 v[101:102], s[26:27], v[99:100]
	v_mul_f64_e32 v[99:100], s[46:47], v[99:100]
	v_fma_f64 v[139:140], v[97:98], s[28:29], v[66:67]
	v_fma_f64 v[66:67], v[97:98], s[28:29], -v[66:67]
	v_fma_f64 v[147:148], v[97:98], s[34:35], v[103:104]
	v_fma_f64 v[97:98], v[97:98], s[34:35], -v[103:104]
	v_add_f64_e32 v[103:104], v[14:15], v[113:114]
	v_add_f64_e32 v[113:114], v[14:15], v[115:116]
	v_add_f64_e32 v[115:116], v[14:15], v[117:118]
	v_add_f64_e32 v[117:118], v[14:15], v[119:120]
	v_add_f64_e32 v[119:120], v[14:15], v[121:122]
	v_add_f64_e32 v[121:122], v[14:15], v[123:124]
	v_add_f64_e32 v[123:124], v[14:15], v[125:126]
	v_mul_f64_e32 v[125:126], s[24:25], v[56:57]
	v_add_f64_e32 v[54:55], v[70:71], v[54:55]
	v_mul_f64_e32 v[70:71], s[44:45], v[48:49]
	v_add_f64_e32 v[58:59], v[131:132], v[58:59]
	v_fma_f64 v[131:132], v[24:25], s[18:19], v[64:65]
	v_fma_f64 v[64:65], v[24:25], s[18:19], -v[64:65]
	v_add_f64_e32 v[34:35], v[38:39], v[34:35]
	v_add_f64_e32 v[38:39], v[14:15], v[46:47]
	;; [unrolled: 1-line block ×3, first 2 shown]
	v_mul_f64_e32 v[46:47], s[14:15], v[56:57]
	v_mul_f64_e32 v[50:51], s[20:21], v[56:57]
	s_wait_alu 0xfffe
	v_mul_f64_e32 v[56:57], s[56:57], v[56:57]
	v_fma_f64 v[155:156], v[52:53], s[22:23], v[60:61]
	v_fma_f64 v[60:61], v[52:53], s[22:23], -v[60:61]
	v_fma_f64 v[157:158], v[52:53], s[18:19], v[101:102]
	v_fma_f64 v[101:102], v[52:53], s[18:19], -v[101:102]
	;; [unrolled: 2-line block ×3, first 2 shown]
	v_add_f64_e32 v[40:41], v[97:98], v[40:41]
	v_add_f64_e32 v[44:45], v[66:67], v[44:45]
	;; [unrolled: 1-line block ×9, first 2 shown]
	v_mul_f64_e32 v[115:116], s[54:55], v[48:49]
	v_mul_f64_e32 v[117:118], s[52:53], v[48:49]
	v_fma_f64 v[123:124], v[32:33], s[12:13], v[125:126]
	v_fma_f64 v[125:126], v[32:33], s[12:13], -v[125:126]
	v_fma_f64 v[137:138], v[32:33], s[40:41], -v[149:150]
	v_fma_f64 v[139:140], v[32:33], s[34:35], v[151:152]
	v_fma_f64 v[141:142], v[32:33], s[34:35], -v[151:152]
	v_fma_f64 v[143:144], v[32:33], s[28:29], v[153:154]
	v_fma_f64 v[145:146], v[32:33], s[28:29], -v[153:154]
	v_add_f64_e32 v[34:35], v[42:43], v[34:35]
	v_add_f64_e32 v[38:39], v[135:136], v[38:39]
	;; [unrolled: 1-line block ×3, first 2 shown]
	v_mul_f64_e32 v[42:43], s[38:39], v[48:49]
	v_mul_f64_e32 v[68:69], s[14:15], v[48:49]
	;; [unrolled: 1-line block ×3, first 2 shown]
	v_fma_f64 v[119:120], v[32:33], s[4:5], v[46:47]
	v_fma_f64 v[46:47], v[32:33], s[4:5], -v[46:47]
	v_fma_f64 v[121:122], v[32:33], s[10:11], v[50:51]
	v_fma_f64 v[50:51], v[32:33], s[10:11], -v[50:51]
	v_fma_f64 v[135:136], v[32:33], s[40:41], v[149:150]
	v_fma_f64 v[147:148], v[32:33], s[22:23], v[56:57]
	v_fma_f64 v[32:33], v[32:33], s[22:23], -v[56:57]
	v_add_f64_e32 v[40:41], v[133:134], v[40:41]
	v_add_f64_e32 v[44:45], v[52:53], v[44:45]
	;; [unrolled: 1-line block ×11, first 2 shown]
	v_mul_f64_e32 v[62:63], s[24:25], v[28:29]
	v_mul_f64_e32 v[103:104], s[44:45], v[28:29]
	;; [unrolled: 1-line block ×4, first 2 shown]
	v_fma_f64 v[149:150], v[24:25], s[40:41], v[70:71]
	v_fma_f64 v[70:71], v[24:25], s[40:41], -v[70:71]
	v_fma_f64 v[151:152], v[24:25], s[12:13], v[115:116]
	v_fma_f64 v[115:116], v[24:25], s[12:13], -v[115:116]
	;; [unrolled: 2-line block ×3, first 2 shown]
	v_add_f64_e32 v[30:31], v[30:31], v[34:35]
	v_add_f64_e32 v[34:35], v[161:162], v[38:39]
	;; [unrolled: 1-line block ×3, first 2 shown]
	v_mul_f64_e32 v[38:39], s[30:31], v[28:29]
	v_mul_f64_e32 v[127:128], s[42:43], v[28:29]
	;; [unrolled: 1-line block ×3, first 2 shown]
	v_fma_f64 v[129:130], v[24:25], s[34:35], v[42:43]
	v_fma_f64 v[42:43], v[24:25], s[34:35], -v[42:43]
	v_fma_f64 v[133:134], v[24:25], s[4:5], v[68:69]
	v_fma_f64 v[68:69], v[24:25], s[4:5], -v[68:69]
	;; [unrolled: 2-line block ×3, first 2 shown]
	v_add_f64_e32 v[50:51], v[50:51], v[58:59]
	v_add_f64_e32 v[40:41], v[125:126], v[40:41]
	v_add_f64_e32 v[32:33], v[32:33], v[44:45]
	v_add_f64_e32 v[48:49], v[143:144], v[56:57]
	v_add_f64_e32 v[36:37], v[145:146], v[36:37]
	v_add_f64_e32 v[56:57], v[123:124], v[99:100]
	v_add_f64_e32 v[97:98], v[147:148], v[97:98]
	v_add_f64_e32 v[44:45], v[135:136], v[52:53]
	v_add_f64_e32 v[52:53], v[119:120], v[66:67]
	v_add_f64_e32 v[66:67], v[121:122], v[101:102]
	v_add_f64_e32 v[46:47], v[46:47], v[54:55]
	v_add_f64_e32 v[54:55], v[141:142], v[60:61]
	v_mul_f64_e32 v[60:61], s[14:15], v[16:17]
	v_mul_f64_e32 v[99:100], s[26:27], v[16:17]
	v_fma_f64 v[123:124], v[12:13], s[12:13], v[62:63]
	v_fma_f64 v[62:63], v[12:13], s[12:13], -v[62:63]
	v_fma_f64 v[125:126], v[12:13], s[40:41], v[103:104]
	v_fma_f64 v[103:104], v[12:13], s[40:41], -v[103:104]
	;; [unrolled: 2-line block ×3, first 2 shown]
	v_mul_f64_e32 v[58:59], s[36:37], v[16:17]
	v_mul_f64_e32 v[101:102], s[46:47], v[16:17]
	;; [unrolled: 1-line block ×3, first 2 shown]
	v_add_f64_e32 v[26:27], v[26:27], v[30:31]
	v_add_f64_e32 v[30:31], v[139:140], v[34:35]
	;; [unrolled: 1-line block ×3, first 2 shown]
	v_fma_f64 v[121:122], v[12:13], s[22:23], v[38:39]
	v_fma_f64 v[38:39], v[12:13], s[22:23], -v[38:39]
	v_fma_f64 v[137:138], v[12:13], s[34:35], v[113:114]
	v_fma_f64 v[113:114], v[12:13], s[34:35], -v[113:114]
	;; [unrolled: 2-line block ×4, first 2 shown]
	v_mul_f64_e32 v[34:35], s[24:25], v[16:17]
	v_mul_f64_e32 v[16:17], s[42:43], v[16:17]
	v_add_f64_e32 v[40:41], v[70:71], v[40:41]
	v_add_f64_e32 v[24:25], v[24:25], v[32:33]
	;; [unrolled: 1-line block ×12, first 2 shown]
	v_mul_f64_e32 v[64:65], s[24:25], v[8:9]
	v_mul_f64_e32 v[66:67], s[26:27], v[8:9]
	;; [unrolled: 1-line block ×4, first 2 shown]
	v_fma_f64 v[117:118], v[4:5], s[4:5], v[60:61]
	v_fma_f64 v[60:61], v[4:5], s[4:5], -v[60:61]
	v_fma_f64 v[129:130], v[4:5], s[18:19], v[99:100]
	v_fma_f64 v[99:100], v[4:5], s[18:19], -v[99:100]
	;; [unrolled: 2-line block ×4, first 2 shown]
	v_add_f64_e32 v[18:19], v[18:19], v[26:27]
	v_add_f64_e32 v[26:27], v[131:132], v[30:31]
	;; [unrolled: 1-line block ×3, first 2 shown]
	v_mul_f64_e32 v[30:31], s[14:15], v[8:9]
	v_mul_f64_e32 v[42:43], s[20:21], v[8:9]
	;; [unrolled: 1-line block ×3, first 2 shown]
	v_fma_f64 v[131:132], v[4:5], s[40:41], v[101:102]
	v_fma_f64 v[101:102], v[4:5], s[40:41], -v[101:102]
	v_fma_f64 v[97:98], v[4:5], s[12:13], v[34:35]
	v_fma_f64 v[34:35], v[4:5], s[12:13], -v[34:35]
	v_add_f64_e32 v[12:13], v[12:13], v[40:41]
	v_add_f64_e32 v[24:25], v[105:106], v[24:25]
	v_fma_f64 v[143:144], v[4:5], s[10:11], v[16:17]
	v_fma_f64 v[4:5], v[4:5], s[10:11], -v[16:17]
	v_add_f64_e32 v[16:17], v[125:126], v[28:29]
	v_add_f64_e32 v[28:29], v[103:104], v[36:37]
	;; [unrolled: 1-line block ×10, first 2 shown]
	v_fma_f64 v[54:55], v[0:1], s[12:13], v[64:65]
	v_fma_f64 v[56:57], v[0:1], s[12:13], -v[64:65]
	v_fma_f64 v[62:63], v[0:1], s[18:19], v[66:67]
	v_fma_f64 v[64:65], v[0:1], s[18:19], -v[66:67]
	;; [unrolled: 2-line block ×4, first 2 shown]
	v_add_f64_e32 v[10:11], v[10:11], v[18:19]
	v_add_f64_e32 v[18:19], v[139:140], v[26:27]
	;; [unrolled: 1-line block ×3, first 2 shown]
	v_fma_f64 v[26:27], v[0:1], s[4:5], v[30:31]
	v_fma_f64 v[30:31], v[0:1], s[4:5], -v[30:31]
	v_fma_f64 v[38:39], v[0:1], s[10:11], v[42:43]
	v_fma_f64 v[42:43], v[0:1], s[10:11], -v[42:43]
	v_fma_f64 v[105:106], v[0:1], s[34:35], v[8:9]
	v_fma_f64 v[0:1], v[0:1], s[34:35], -v[8:9]
	v_add_f64_e32 v[12:13], v[60:61], v[12:13]
	v_add_f64_e32 v[24:25], v[99:100], v[24:25]
	;; [unrolled: 1-line block ×30, first 2 shown]
	v_lshlrev_b32_e32 v14, 7, v111
	s_delay_alu instid0(VALU_DEP_1)
	v_add3_u32 v14, v109, v14, v112
	ds_store_2addr_b64 v14, v[84:85], v[86:87] offset0:8 offset1:9
	ds_store_2addr_b64 v14, v[0:1], v[12:13] offset0:10 offset1:11
	;; [unrolled: 1-line block ×6, first 2 shown]
	ds_store_2addr_b64 v14, v[2:3], v[24:25] offset1:1
	ds_store_2addr_b64 v14, v[26:27], v[6:7] offset0:2 offset1:3
	ds_store_b64 v14, v[10:11] offset:128
.LBB0_18:
	s_or_b32 exec_lo, exec_lo, s33
	global_wb scope:SCOPE_SE
	s_wait_dscnt 0x0
	s_barrier_signal -1
	s_barrier_wait -1
	global_inv scope:SCOPE_SE
	ds_load_2addr_b64 v[0:3], v108 offset0:102 offset1:153
	ds_load_2addr_b64 v[4:7], v108 offset0:34 offset1:68
	;; [unrolled: 1-line block ×3, first 2 shown]
	ds_load_b64 v[36:37], v107
	ds_load_b64 v[38:39], v108 offset:2040
	s_and_saveexec_b32 s0, s1
	s_cbranch_execz .LBB0_20
; %bb.19:
	v_add_nc_u32_e32 v12, 0x400, v108
	ds_load_2addr_b64 v[84:87], v12 offset0:8 offset1:161
.LBB0_20:
	s_wait_alu 0xfffe
	s_or_b32 exec_lo, exec_lo, s0
	v_add_nc_u16 v12, v111, 34
	v_add_nc_u16 v13, v111, 0x44
	;; [unrolled: 1-line block ×3, first 2 shown]
	v_mov_b32_e32 v41, 0
	s_delay_alu instid0(VALU_DEP_4) | instskip(NEXT) | instid1(VALU_DEP_4)
	v_and_b32_e32 v15, 0xff, v12
	v_and_b32_e32 v16, 0xff, v13
	s_delay_alu instid0(VALU_DEP_4) | instskip(NEXT) | instid1(VALU_DEP_3)
	v_and_b32_e32 v17, 0xff, v14
	v_mul_lo_u16 v15, 0xf1, v15
	s_delay_alu instid0(VALU_DEP_3) | instskip(NEXT) | instid1(VALU_DEP_3)
	v_mul_lo_u16 v16, 0xf1, v16
	v_mul_lo_u16 v17, 0xf1, v17
	s_delay_alu instid0(VALU_DEP_3) | instskip(NEXT) | instid1(VALU_DEP_3)
	v_lshrrev_b16 v61, 12, v15
	v_lshrrev_b16 v62, 12, v16
	v_subrev_nc_u32_e32 v15, 17, v111
	s_delay_alu instid0(VALU_DEP_4) | instskip(NEXT) | instid1(VALU_DEP_4)
	v_lshrrev_b16 v63, 12, v17
	v_mul_lo_u16 v16, v61, 17
	s_delay_alu instid0(VALU_DEP_4) | instskip(NEXT) | instid1(VALU_DEP_4)
	v_mul_lo_u16 v17, v62, 17
	v_cndmask_b32_e64 v40, v15, v111, s1
	s_delay_alu instid0(VALU_DEP_4) | instskip(NEXT) | instid1(VALU_DEP_4)
	v_mul_lo_u16 v18, v63, 17
	v_sub_nc_u16 v15, v12, v16
	s_delay_alu instid0(VALU_DEP_4) | instskip(NEXT) | instid1(VALU_DEP_4)
	v_sub_nc_u16 v16, v13, v17
	v_lshlrev_b64_e32 v[12:13], 4, v[40:41]
	s_delay_alu instid0(VALU_DEP_4) | instskip(SKIP_3) | instid1(VALU_DEP_4)
	v_sub_nc_u16 v14, v14, v18
	v_lshlrev_b32_e32 v40, 3, v40
	v_and_b32_e32 v64, 0xff, v15
	v_and_b32_e32 v65, 0xff, v16
	;; [unrolled: 1-line block ×3, first 2 shown]
	v_add_co_u32 v12, s0, s8, v12
	s_wait_alu 0xf1ff
	v_add_co_ci_u32_e64 v13, s0, s9, v13, s0
	v_lshlrev_b32_e32 v16, 4, v64
	v_lshlrev_b32_e32 v17, 4, v65
	;; [unrolled: 1-line block ×3, first 2 shown]
	s_clause 0x3
	global_load_b128 v[12:15], v[12:13], off
	global_load_b128 v[24:27], v16, s[8:9]
	global_load_b128 v[28:31], v17, s[8:9]
	;; [unrolled: 1-line block ×3, first 2 shown]
	v_add_nc_u16 v16, v111, 0x88
	v_cmp_lt_u32_e64 s0, 16, v111
	s_delay_alu instid0(VALU_DEP_2) | instskip(NEXT) | instid1(VALU_DEP_1)
	v_and_b32_e32 v17, 0xff, v16
	v_mul_lo_u16 v17, 0xf1, v17
	s_delay_alu instid0(VALU_DEP_1) | instskip(NEXT) | instid1(VALU_DEP_1)
	v_lshrrev_b16 v17, 12, v17
	v_mul_lo_u16 v17, v17, 17
	s_delay_alu instid0(VALU_DEP_1) | instskip(NEXT) | instid1(VALU_DEP_1)
	v_sub_nc_u16 v16, v16, v17
	v_and_b32_e32 v67, 0xff, v16
	s_delay_alu instid0(VALU_DEP_1)
	v_lshlrev_b32_e32 v16, 4, v67
	global_load_b128 v[16:19], v16, s[8:9]
	global_wb scope:SCOPE_SE
	s_wait_loadcnt_dscnt 0x0
	s_barrier_signal -1
	s_barrier_wait -1
	global_inv scope:SCOPE_SE
	v_mul_f64_e32 v[41:42], v[2:3], v[14:15]
	v_mul_f64_e32 v[43:44], v[8:9], v[26:27]
	;; [unrolled: 1-line block ×4, first 2 shown]
	s_delay_alu instid0(VALU_DEP_4) | instskip(NEXT) | instid1(VALU_DEP_4)
	v_fma_f64 v[41:42], v[78:79], v[12:13], -v[41:42]
	v_fma_f64 v[43:44], v[72:73], v[24:25], -v[43:44]
	s_delay_alu instid0(VALU_DEP_4) | instskip(NEXT) | instid1(VALU_DEP_4)
	v_fma_f64 v[45:46], v[74:75], v[28:29], -v[45:46]
	v_fma_f64 v[47:48], v[93:94], v[32:33], -v[47:48]
	s_delay_alu instid0(VALU_DEP_4) | instskip(NEXT) | instid1(VALU_DEP_4)
	v_add_f64_e64 v[49:50], v[95:96], -v[41:42]
	v_add_f64_e64 v[51:52], v[80:81], -v[43:44]
	s_delay_alu instid0(VALU_DEP_4) | instskip(NEXT) | instid1(VALU_DEP_4)
	v_add_f64_e64 v[45:46], v[82:83], -v[45:46]
	v_add_f64_e64 v[47:48], v[76:77], -v[47:48]
	s_wait_alu 0xf1ff
	v_cndmask_b32_e64 v41, 0, 0x110, s0
	v_and_b32_e32 v42, 0xffff, v61
	v_and_b32_e32 v43, 0xffff, v62
	;; [unrolled: 1-line block ×3, first 2 shown]
	v_lshlrev_b32_e32 v61, 3, v64
	v_add_nc_u32_e32 v41, 0, v41
	v_mad_u32_u24 v42, 0x110, v42, 0
	v_mad_u32_u24 v43, 0x110, v43, 0
	;; [unrolled: 1-line block ×3, first 2 shown]
	v_lshlrev_b32_e32 v62, 3, v65
	v_lshlrev_b32_e32 v63, 3, v66
	v_add3_u32 v41, v41, v40, v112
	v_lshlrev_b32_e32 v40, 3, v67
	v_add3_u32 v42, v42, v61, v112
	v_add3_u32 v43, v43, v62, v112
	;; [unrolled: 1-line block ×3, first 2 shown]
	v_fma_f64 v[53:54], v[95:96], 2.0, -v[49:50]
	v_fma_f64 v[55:56], v[80:81], 2.0, -v[51:52]
	;; [unrolled: 1-line block ×4, first 2 shown]
	ds_store_2addr_b64 v41, v[53:54], v[49:50] offset1:17
	ds_store_2addr_b64 v42, v[55:56], v[51:52] offset1:17
	;; [unrolled: 1-line block ×4, first 2 shown]
	s_and_saveexec_b32 s0, s1
	s_cbranch_execz .LBB0_22
; %bb.21:
	v_mul_f64_e32 v[45:46], v[86:87], v[18:19]
	v_add3_u32 v47, 0, v40, v112
	s_delay_alu instid0(VALU_DEP_1) | instskip(NEXT) | instid1(VALU_DEP_3)
	v_add_nc_u32_e32 v47, 0x800, v47
	v_fma_f64 v[45:46], v[22:23], v[16:17], -v[45:46]
	s_delay_alu instid0(VALU_DEP_1) | instskip(NEXT) | instid1(VALU_DEP_1)
	v_add_f64_e64 v[45:46], v[20:21], -v[45:46]
	v_fma_f64 v[20:21], v[20:21], 2.0, -v[45:46]
	ds_store_2addr_b64 v47, v[20:21], v[45:46] offset0:16 offset1:33
.LBB0_22:
	s_wait_alu 0xfffe
	s_or_b32 exec_lo, exec_lo, s0
	v_mul_f64_e32 v[14:15], v[78:79], v[14:15]
	v_mul_f64_e32 v[20:21], v[72:73], v[26:27]
	;; [unrolled: 1-line block ×4, first 2 shown]
	global_wb scope:SCOPE_SE
	s_wait_dscnt 0x0
	s_barrier_signal -1
	s_barrier_wait -1
	global_inv scope:SCOPE_SE
	v_fma_f64 v[2:3], v[2:3], v[12:13], v[14:15]
	v_fma_f64 v[8:9], v[8:9], v[24:25], v[20:21]
	;; [unrolled: 1-line block ×4, first 2 shown]
	s_delay_alu instid0(VALU_DEP_4) | instskip(NEXT) | instid1(VALU_DEP_4)
	v_add_f64_e64 v[24:25], v[36:37], -v[2:3]
	v_add_f64_e64 v[26:27], v[4:5], -v[8:9]
	s_delay_alu instid0(VALU_DEP_4) | instskip(NEXT) | instid1(VALU_DEP_4)
	v_add_f64_e64 v[28:29], v[6:7], -v[10:11]
	v_add_f64_e64 v[30:31], v[0:1], -v[12:13]
	v_add_nc_u32_e32 v8, 0x400, v108
	v_fma_f64 v[32:33], v[36:37], 2.0, -v[24:25]
	v_fma_f64 v[34:35], v[4:5], 2.0, -v[26:27]
	;; [unrolled: 1-line block ×4, first 2 shown]
	ds_load_b64 v[20:21], v107
	ds_load_2addr_b64 v[12:15], v108 offset0:34 offset1:68
	ds_load_2addr_b64 v[0:3], v108 offset0:102 offset1:136
	;; [unrolled: 1-line block ×4, first 2 shown]
	global_wb scope:SCOPE_SE
	s_wait_dscnt 0x0
	s_barrier_signal -1
	s_barrier_wait -1
	global_inv scope:SCOPE_SE
	ds_store_2addr_b64 v41, v[32:33], v[24:25] offset1:17
	ds_store_2addr_b64 v42, v[34:35], v[26:27] offset1:17
	;; [unrolled: 1-line block ×4, first 2 shown]
	s_and_saveexec_b32 s0, s1
	s_cbranch_execz .LBB0_24
; %bb.23:
	v_mul_f64_e32 v[18:19], v[22:23], v[18:19]
	v_add3_u32 v22, 0, v40, v112
	s_delay_alu instid0(VALU_DEP_1) | instskip(NEXT) | instid1(VALU_DEP_3)
	v_add_nc_u32_e32 v22, 0x800, v22
	v_fma_f64 v[16:17], v[86:87], v[16:17], v[18:19]
	s_delay_alu instid0(VALU_DEP_1) | instskip(NEXT) | instid1(VALU_DEP_1)
	v_add_f64_e64 v[16:17], v[84:85], -v[16:17]
	v_fma_f64 v[18:19], v[84:85], 2.0, -v[16:17]
	ds_store_2addr_b64 v22, v[18:19], v[16:17] offset0:16 offset1:33
.LBB0_24:
	s_wait_alu 0xfffe
	s_or_b32 exec_lo, exec_lo, s0
	global_wb scope:SCOPE_SE
	s_wait_dscnt 0x0
	s_barrier_signal -1
	s_barrier_wait -1
	global_inv scope:SCOPE_SE
	s_and_saveexec_b32 s0, vcc_lo
	s_cbranch_execz .LBB0_26
; %bb.25:
	v_dual_mov_b32 v93, 0 :: v_dual_add_nc_u32 v62, 0x400, v108
	s_mov_b32 s0, 0x8c811c17
	s_mov_b32 s1, 0x3fef838b
	;; [unrolled: 1-line block ×3, first 2 shown]
	s_delay_alu instid0(VALU_DEP_1)
	v_lshlrev_b64_e32 v[16:17], 4, v[92:93]
	s_mov_b32 s4, 0x523c161c
	v_mul_lo_u32 v94, s3, v90
	v_mul_lo_u32 v95, s2, v91
	s_mov_b32 s3, 0xbfebb67a
	v_lshlrev_b64_e32 v[80:81], 4, v[88:89]
	v_add_co_u32 v46, vcc_lo, s8, v16
	s_wait_alu 0xfffd
	v_add_co_ci_u32_e32 v47, vcc_lo, s9, v17, vcc_lo
	s_mov_b32 s8, 0xa2cf5039
	s_mov_b32 s9, 0x3fe8836f
	v_add_nc_u32_e32 v99, 0x88, v110
	s_clause 0x7
	global_load_b128 v[16:19], v[46:47], off offset:320
	global_load_b128 v[22:25], v[46:47], off offset:336
	;; [unrolled: 1-line block ×8, first 2 shown]
	ds_load_2addr_b64 v[50:53], v108 offset0:102 offset1:136
	ds_load_2addr_b64 v[54:57], v108 offset0:170 offset1:204
	;; [unrolled: 1-line block ×4, first 2 shown]
	v_add_nc_u32_e32 v97, 0x44, v110
	v_add_nc_u32_e32 v101, 0xcc, v110
	v_mad_co_u64_u32 v[78:79], null, s16, v110, 0
	v_add_nc_u32_e32 v102, 0xee, v110
	v_add_nc_u32_e32 v103, 0x110, v110
	s_delay_alu instid0(VALU_DEP_1)
	v_mad_co_u64_u32 v[92:93], null, s16, v103, 0
	s_wait_loadcnt_dscnt 0x703
	v_mul_f64_e32 v[66:67], v[52:53], v[18:19]
	s_wait_loadcnt_dscnt 0x602
	v_mul_f64_e32 v[68:69], v[54:55], v[24:25]
	v_mul_f64_e32 v[18:19], v[2:3], v[18:19]
	;; [unrolled: 1-line block ×3, first 2 shown]
	s_wait_loadcnt_dscnt 0x501
	v_mul_f64_e32 v[70:71], v[60:61], v[28:29]
	s_wait_loadcnt_dscnt 0x400
	v_mul_f64_e32 v[72:73], v[62:63], v[32:33]
	s_wait_loadcnt 0x3
	v_mul_f64_e32 v[74:75], v[58:59], v[36:37]
	v_mul_f64_e32 v[28:29], v[14:15], v[28:29]
	;; [unrolled: 1-line block ×4, first 2 shown]
	s_wait_loadcnt 0x2
	v_mul_f64_e32 v[76:77], v[10:11], v[40:41]
	v_mul_f64_e32 v[40:41], v[64:65], v[40:41]
	v_fma_f64 v[2:3], v[2:3], v[16:17], -v[66:67]
	v_fma_f64 v[4:5], v[4:5], v[22:23], -v[68:69]
	v_fma_f64 v[16:17], v[16:17], v[52:53], v[18:19]
	v_fma_f64 v[18:19], v[22:23], v[54:55], v[24:25]
	s_wait_loadcnt 0x1
	v_mul_f64_e32 v[22:23], v[50:51], v[44:45]
	s_wait_loadcnt 0x0
	v_mul_f64_e32 v[24:25], v[56:57], v[48:49]
	v_mul_f64_e32 v[44:45], v[0:1], v[44:45]
	;; [unrolled: 1-line block ×3, first 2 shown]
	v_fma_f64 v[14:15], v[14:15], v[26:27], -v[70:71]
	v_fma_f64 v[8:9], v[8:9], v[30:31], -v[72:73]
	;; [unrolled: 1-line block ×3, first 2 shown]
	v_fma_f64 v[26:27], v[26:27], v[60:61], v[28:29]
	v_fma_f64 v[28:29], v[30:31], v[62:63], v[32:33]
	;; [unrolled: 1-line block ×4, first 2 shown]
	v_fma_f64 v[10:11], v[10:11], v[38:39], -v[40:41]
	v_mad_co_u64_u32 v[76:77], null, s2, v90, 0
	v_mad_co_u64_u32 v[90:91], null, s16, v102, 0
	s_delay_alu instid0(VALU_DEP_2)
	v_add3_u32 v77, v77, v95, v94
	v_add_f64_e64 v[34:35], v[2:3], -v[4:5]
	v_add_f64_e64 v[36:37], v[16:17], -v[18:19]
	v_fma_f64 v[0:1], v[0:1], v[42:43], -v[22:23]
	v_fma_f64 v[6:7], v[6:7], v[46:47], -v[24:25]
	v_fma_f64 v[22:23], v[42:43], v[50:51], v[44:45]
	v_fma_f64 v[24:25], v[46:47], v[56:57], v[48:49]
	v_add_f64_e32 v[38:39], v[16:17], v[18:19]
	v_add_f64_e32 v[42:43], v[14:15], v[8:9]
	v_add_f64_e64 v[8:9], v[14:15], -v[8:9]
	v_add_f64_e32 v[14:15], v[2:3], v[4:5]
	v_add_f64_e32 v[40:41], v[26:27], v[28:29]
	v_add_f64_e64 v[26:27], v[26:27], -v[28:29]
	;; [unrolled: 3-line block ×3, first 2 shown]
	v_add_f64_e64 v[12:13], v[30:31], -v[32:33]
	ds_load_b64 v[30:31], v107
	s_wait_alu 0xfffe
	v_mul_f64_e32 v[28:29], s[0:1], v[34:35]
	v_mul_f64_e32 v[62:63], s[4:5], v[34:35]
	;; [unrolled: 1-line block ×4, first 2 shown]
	v_add_f64_e32 v[50:51], v[0:1], v[6:7]
	v_add_f64_e64 v[0:1], v[0:1], -v[6:7]
	v_add_f64_e32 v[32:33], v[22:23], v[24:25]
	s_wait_dscnt 0x0
	v_fma_f64 v[60:61], v[38:39], s[8:9], v[30:31]
	v_fma_f64 v[54:55], v[42:43], s[8:9], v[20:21]
	v_add_f64_e64 v[6:7], v[22:23], -v[24:25]
	v_fma_f64 v[66:67], v[14:15], s[8:9], v[20:21]
	v_fma_f64 v[52:53], v[40:41], s[8:9], v[30:31]
	v_add_f64_e32 v[56:57], v[40:41], v[44:45]
	v_add_f64_e32 v[58:59], v[42:43], v[46:47]
	v_fma_f64 v[68:69], v[44:45], s[8:9], v[30:31]
	v_fma_f64 v[70:71], v[46:47], s[8:9], v[20:21]
	v_add_f64_e32 v[82:83], v[34:35], v[10:11]
	v_add_f64_e32 v[86:87], v[36:37], v[12:13]
	s_mov_b32 s8, 0x42522d1b
	s_mov_b32 s9, 0xbfee11f6
	v_fma_f64 v[28:29], v[8:9], s[4:5], -v[28:29]
	v_fma_f64 v[62:63], v[10:11], s[0:1], v[62:63]
	v_fma_f64 v[48:49], v[26:27], s[4:5], -v[48:49]
	s_mov_b32 s5, 0x3fe491b7
	v_fma_f64 v[64:65], v[12:13], s[0:1], v[64:65]
	s_wait_alu 0xfffe
	v_mul_f64_e32 v[72:73], s[4:5], v[10:11]
	v_mul_f64_e32 v[74:75], s[4:5], v[12:13]
	s_mov_b32 s4, 0x7e0b738b
	s_mov_b32 s5, 0x3fc63a1a
	v_add_f64_e32 v[84:85], v[32:33], v[30:31]
	s_wait_alu 0xfffe
	v_fma_f64 v[24:25], v[14:15], s[4:5], v[54:55]
	v_fma_f64 v[22:23], v[38:39], s[4:5], v[52:53]
	;; [unrolled: 1-line block ×3, first 2 shown]
	v_add_f64_e32 v[52:53], v[32:33], v[56:57]
	v_add_f64_e32 v[54:55], v[50:51], v[58:59]
	v_fma_f64 v[66:67], v[46:47], s[4:5], v[66:67]
	v_fma_f64 v[68:69], v[40:41], s[4:5], v[68:69]
	;; [unrolled: 1-line block ×3, first 2 shown]
	v_add_f64_e32 v[88:89], v[20:21], v[50:51]
	v_add_f64_e32 v[56:57], v[38:39], v[56:57]
	;; [unrolled: 1-line block ×3, first 2 shown]
	s_mov_b32 s4, 0x748a0bf8
	s_mov_b32 s5, 0x3fd5e3a8
	v_add_f64_e64 v[82:83], v[82:83], -v[8:9]
	v_add_f64_e64 v[86:87], v[86:87], -v[26:27]
	v_fma_f64 v[72:73], v[8:9], s[0:1], v[72:73]
	v_fma_f64 v[74:75], v[26:27], s[0:1], v[74:75]
	s_mov_b32 s0, 0xe8584cab
	s_mov_b32 s1, 0x3febb67a
	s_wait_alu 0xfffe
	s_mov_b32 s2, s0
	v_fma_f64 v[28:29], v[0:1], s[0:1], v[28:29]
	v_fma_f64 v[22:23], v[32:33], -0.5, v[22:23]
	v_fma_f64 v[48:49], v[6:7], s[0:1], v[48:49]
	v_fma_f64 v[24:25], v[50:51], -0.5, v[24:25]
	v_add_f64_e32 v[16:17], v[16:17], v[52:53]
	v_add_f64_e32 v[2:3], v[2:3], v[54:55]
	v_fma_f64 v[52:53], v[32:33], -0.5, v[60:61]
	s_wait_alu 0xfffe
	v_fma_f64 v[54:55], v[0:1], s[2:3], v[62:63]
	v_fma_f64 v[62:63], v[50:51], -0.5, v[66:67]
	v_fma_f64 v[60:61], v[6:7], s[2:3], v[64:65]
	v_fma_f64 v[32:33], v[32:33], -0.5, v[68:69]
	v_fma_f64 v[50:51], v[50:51], -0.5, v[70:71]
	;; [unrolled: 1-line block ×4, first 2 shown]
	v_mad_co_u64_u32 v[70:71], null, s16, v99, 0
	v_mad_co_u64_u32 v[66:67], null, s16, v97, 0
	v_add_nc_u32_e32 v98, 0x66, v110
	v_add_nc_u32_e32 v96, 34, v110
	v_fma_f64 v[0:1], v[0:1], s[0:1], v[72:73]
	v_fma_f64 v[6:7], v[6:7], s[0:1], v[74:75]
	v_mad_co_u64_u32 v[74:75], null, s16, v101, 0
	v_add_nc_u32_e32 v100, 0xaa, v110
	v_fma_f64 v[28:29], v[10:11], s[4:5], v[28:29]
	v_fma_f64 v[10:11], v[44:45], s[8:9], v[22:23]
	;; [unrolled: 1-line block ×4, first 2 shown]
	v_add_f64_e32 v[16:17], v[18:19], v[16:17]
	v_add_f64_e32 v[18:19], v[4:5], v[2:3]
	v_fma_f64 v[22:23], v[40:41], s[8:9], v[52:53]
	v_fma_f64 v[40:41], v[8:9], s[4:5], v[54:55]
	;; [unrolled: 1-line block ×6, first 2 shown]
	v_mov_b32_e32 v5, v71
	v_mad_co_u64_u32 v[68:69], null, s16, v98, 0
	v_mov_b32_e32 v3, v67
	v_mad_co_u64_u32 v[64:65], null, s16, v96, 0
	v_mul_f64_e32 v[54:55], s[0:1], v[86:87]
	s_delay_alu instid0(VALU_DEP_4) | instskip(NEXT) | instid1(VALU_DEP_3)
	v_mov_b32_e32 v4, v69
	v_mov_b32_e32 v2, v65
	s_delay_alu instid0(VALU_DEP_2) | instskip(SKIP_1) | instid1(VALU_DEP_3)
	v_mad_co_u64_u32 v[48:49], null, s17, v98, v[4:5]
	v_mad_co_u64_u32 v[42:43], null, s17, v97, v[3:4]
	;; [unrolled: 1-line block ×3, first 2 shown]
	v_fma_f64 v[2:3], v[82:83], s[2:3], v[56:57]
	v_fma_f64 v[32:33], v[34:35], s[4:5], v[0:1]
	;; [unrolled: 1-line block ×3, first 2 shown]
	v_mov_b32_e32 v7, v75
	v_mad_co_u64_u32 v[72:73], null, s16, v100, 0
	v_lshlrev_b64_e32 v[0:1], 4, v[76:77]
	v_mad_co_u64_u32 v[36:37], null, s17, v110, v[79:80]
	v_mov_b32_e32 v65, v38
	v_mov_b32_e32 v67, v42
	v_dual_mov_b32 v69, v48 :: v_dual_mov_b32 v6, v73
	v_add_co_u32 v39, vcc_lo, s6, v0
	s_wait_alu 0xfffd
	v_add_co_ci_u32_e32 v43, vcc_lo, s7, v1, vcc_lo
	s_delay_alu instid0(VALU_DEP_3)
	v_mad_co_u64_u32 v[49:50], null, s17, v99, v[5:6]
	v_mad_co_u64_u32 v[50:51], null, s17, v100, v[6:7]
	;; [unrolled: 1-line block ×3, first 2 shown]
	v_add_f64_e64 v[6:7], v[10:11], -v[28:29]
	v_add_f64_e32 v[4:5], v[44:45], v[12:13]
	v_mul_f64_e32 v[52:53], s[0:1], v[82:83]
	v_fma_f64 v[0:1], v[86:87], s[0:1], v[58:59]
	v_add_f64_e64 v[14:15], v[22:23], -v[40:41]
	v_add_f64_e32 v[12:13], v[46:47], v[8:9]
	v_add_f64_e32 v[10:11], v[30:31], v[16:17]
	;; [unrolled: 1-line block ×3, first 2 shown]
	v_mov_b32_e32 v79, v36
	v_add_co_u32 v36, vcc_lo, v39, v80
	s_wait_alu 0xfffd
	v_add_co_ci_u32_e32 v58, vcc_lo, v43, v81, vcc_lo
	s_delay_alu instid0(VALU_DEP_3)
	v_lshlrev_b64_e32 v[20:21], 4, v[78:79]
	v_lshlrev_b64_e32 v[22:23], 4, v[64:65]
	v_mov_b32_e32 v71, v49
	v_add_f64_e64 v[18:19], v[24:25], -v[32:33]
	v_add_f64_e32 v[16:17], v[34:35], v[26:27]
	v_lshlrev_b64_e32 v[24:25], 4, v[66:67]
	v_add_co_u32 v38, vcc_lo, v36, v20
	s_wait_alu 0xfffd
	v_add_co_ci_u32_e32 v39, vcc_lo, v58, v21, vcc_lo
	v_lshlrev_b64_e32 v[26:27], 4, v[68:69]
	v_add_co_u32 v42, vcc_lo, v36, v22
	s_wait_alu 0xfffd
	v_add_co_ci_u32_e32 v43, vcc_lo, v58, v23, vcc_lo
	v_add_co_u32 v48, vcc_lo, v36, v24
	s_wait_alu 0xfffd
	v_add_co_ci_u32_e32 v49, vcc_lo, v58, v25, vcc_lo
	;; [unrolled: 3-line block ×3, first 2 shown]
	v_mov_b32_e32 v37, v91
	v_mov_b32_e32 v73, v50
	v_fma_f64 v[26:27], v[28:29], 2.0, v[6:7]
	v_fma_f64 v[24:25], v[44:45], -2.0, v[4:5]
	v_fma_f64 v[22:23], v[52:53], 2.0, v[2:3]
	v_fma_f64 v[20:21], v[54:55], -2.0, v[0:1]
	;; [unrolled: 2-line block ×3, first 2 shown]
	v_mov_b32_e32 v75, v51
	s_clause 0x3
	global_store_b128 v[38:39], v[8:11], off
	global_store_b128 v[42:43], v[16:19], off
	;; [unrolled: 1-line block ×4, first 2 shown]
	v_fma_f64 v[10:11], v[32:33], 2.0, v[18:19]
	v_fma_f64 v[8:9], v[34:35], -2.0, v[16:17]
	v_mad_co_u64_u32 v[2:3], null, s17, v102, v[37:38]
	v_mov_b32_e32 v3, v93
	v_lshlrev_b64_e32 v[0:1], 4, v[70:71]
	v_lshlrev_b64_e32 v[12:13], 4, v[72:73]
	s_delay_alu instid0(VALU_DEP_3) | instskip(NEXT) | instid1(VALU_DEP_3)
	v_mad_co_u64_u32 v[14:15], null, s17, v103, v[3:4]
	v_add_co_u32 v0, vcc_lo, v36, v0
	v_lshlrev_b64_e32 v[15:16], 4, v[74:75]
	v_mov_b32_e32 v91, v2
	s_wait_alu 0xfffd
	v_add_co_ci_u32_e32 v1, vcc_lo, v58, v1, vcc_lo
	v_add_co_u32 v2, vcc_lo, v36, v12
	v_mov_b32_e32 v93, v14
	s_wait_alu 0xfffd
	v_add_co_ci_u32_e32 v3, vcc_lo, v58, v13, vcc_lo
	v_lshlrev_b64_e32 v[12:13], 4, v[90:91]
	v_add_co_u32 v14, vcc_lo, v36, v15
	s_wait_alu 0xfffd
	v_add_co_ci_u32_e32 v15, vcc_lo, v58, v16, vcc_lo
	v_lshlrev_b64_e32 v[16:17], 4, v[92:93]
	s_delay_alu instid0(VALU_DEP_4) | instskip(SKIP_2) | instid1(VALU_DEP_3)
	v_add_co_u32 v12, vcc_lo, v36, v12
	s_wait_alu 0xfffd
	v_add_co_ci_u32_e32 v13, vcc_lo, v58, v13, vcc_lo
	v_add_co_u32 v16, vcc_lo, v36, v16
	s_wait_alu 0xfffd
	v_add_co_ci_u32_e32 v17, vcc_lo, v58, v17, vcc_lo
	s_clause 0x4
	global_store_b128 v[0:1], v[4:7], off
	global_store_b128 v[2:3], v[24:27], off
	;; [unrolled: 1-line block ×5, first 2 shown]
.LBB0_26:
	s_nop 0
	s_sendmsg sendmsg(MSG_DEALLOC_VGPRS)
	s_endpgm
	.section	.rodata,"a",@progbits
	.p2align	6, 0x0
	.amdhsa_kernel fft_rtc_fwd_len306_factors_17_2_9_wgs_238_tpt_34_halfLds_dp_op_CI_CI_sbrr_dirReg
		.amdhsa_group_segment_fixed_size 0
		.amdhsa_private_segment_fixed_size 0
		.amdhsa_kernarg_size 104
		.amdhsa_user_sgpr_count 2
		.amdhsa_user_sgpr_dispatch_ptr 0
		.amdhsa_user_sgpr_queue_ptr 0
		.amdhsa_user_sgpr_kernarg_segment_ptr 1
		.amdhsa_user_sgpr_dispatch_id 0
		.amdhsa_user_sgpr_private_segment_size 0
		.amdhsa_wavefront_size32 1
		.amdhsa_uses_dynamic_stack 0
		.amdhsa_enable_private_segment 0
		.amdhsa_system_sgpr_workgroup_id_x 1
		.amdhsa_system_sgpr_workgroup_id_y 0
		.amdhsa_system_sgpr_workgroup_id_z 0
		.amdhsa_system_sgpr_workgroup_info 0
		.amdhsa_system_vgpr_workitem_id 0
		.amdhsa_next_free_vgpr 199
		.amdhsa_next_free_sgpr 60
		.amdhsa_reserve_vcc 1
		.amdhsa_float_round_mode_32 0
		.amdhsa_float_round_mode_16_64 0
		.amdhsa_float_denorm_mode_32 3
		.amdhsa_float_denorm_mode_16_64 3
		.amdhsa_fp16_overflow 0
		.amdhsa_workgroup_processor_mode 1
		.amdhsa_memory_ordered 1
		.amdhsa_forward_progress 0
		.amdhsa_round_robin_scheduling 0
		.amdhsa_exception_fp_ieee_invalid_op 0
		.amdhsa_exception_fp_denorm_src 0
		.amdhsa_exception_fp_ieee_div_zero 0
		.amdhsa_exception_fp_ieee_overflow 0
		.amdhsa_exception_fp_ieee_underflow 0
		.amdhsa_exception_fp_ieee_inexact 0
		.amdhsa_exception_int_div_zero 0
	.end_amdhsa_kernel
	.text
.Lfunc_end0:
	.size	fft_rtc_fwd_len306_factors_17_2_9_wgs_238_tpt_34_halfLds_dp_op_CI_CI_sbrr_dirReg, .Lfunc_end0-fft_rtc_fwd_len306_factors_17_2_9_wgs_238_tpt_34_halfLds_dp_op_CI_CI_sbrr_dirReg
                                        ; -- End function
	.section	.AMDGPU.csdata,"",@progbits
; Kernel info:
; codeLenInByte = 10988
; NumSgprs: 62
; NumVgprs: 199
; ScratchSize: 0
; MemoryBound: 1
; FloatMode: 240
; IeeeMode: 1
; LDSByteSize: 0 bytes/workgroup (compile time only)
; SGPRBlocks: 7
; VGPRBlocks: 24
; NumSGPRsForWavesPerEU: 62
; NumVGPRsForWavesPerEU: 199
; Occupancy: 7
; WaveLimiterHint : 1
; COMPUTE_PGM_RSRC2:SCRATCH_EN: 0
; COMPUTE_PGM_RSRC2:USER_SGPR: 2
; COMPUTE_PGM_RSRC2:TRAP_HANDLER: 0
; COMPUTE_PGM_RSRC2:TGID_X_EN: 1
; COMPUTE_PGM_RSRC2:TGID_Y_EN: 0
; COMPUTE_PGM_RSRC2:TGID_Z_EN: 0
; COMPUTE_PGM_RSRC2:TIDIG_COMP_CNT: 0
	.text
	.p2alignl 7, 3214868480
	.fill 96, 4, 3214868480
	.type	__hip_cuid_5e1c99cc252b7e75,@object ; @__hip_cuid_5e1c99cc252b7e75
	.section	.bss,"aw",@nobits
	.globl	__hip_cuid_5e1c99cc252b7e75
__hip_cuid_5e1c99cc252b7e75:
	.byte	0                               ; 0x0
	.size	__hip_cuid_5e1c99cc252b7e75, 1

	.ident	"AMD clang version 19.0.0git (https://github.com/RadeonOpenCompute/llvm-project roc-6.4.0 25133 c7fe45cf4b819c5991fe208aaa96edf142730f1d)"
	.section	".note.GNU-stack","",@progbits
	.addrsig
	.addrsig_sym __hip_cuid_5e1c99cc252b7e75
	.amdgpu_metadata
---
amdhsa.kernels:
  - .args:
      - .actual_access:  read_only
        .address_space:  global
        .offset:         0
        .size:           8
        .value_kind:     global_buffer
      - .offset:         8
        .size:           8
        .value_kind:     by_value
      - .actual_access:  read_only
        .address_space:  global
        .offset:         16
        .size:           8
        .value_kind:     global_buffer
      - .actual_access:  read_only
        .address_space:  global
        .offset:         24
        .size:           8
        .value_kind:     global_buffer
      - .actual_access:  read_only
        .address_space:  global
        .offset:         32
        .size:           8
        .value_kind:     global_buffer
      - .offset:         40
        .size:           8
        .value_kind:     by_value
      - .actual_access:  read_only
        .address_space:  global
        .offset:         48
        .size:           8
        .value_kind:     global_buffer
      - .actual_access:  read_only
        .address_space:  global
        .offset:         56
        .size:           8
        .value_kind:     global_buffer
      - .offset:         64
        .size:           4
        .value_kind:     by_value
      - .actual_access:  read_only
        .address_space:  global
        .offset:         72
        .size:           8
        .value_kind:     global_buffer
      - .actual_access:  read_only
        .address_space:  global
        .offset:         80
        .size:           8
        .value_kind:     global_buffer
      - .actual_access:  read_only
        .address_space:  global
        .offset:         88
        .size:           8
        .value_kind:     global_buffer
      - .actual_access:  write_only
        .address_space:  global
        .offset:         96
        .size:           8
        .value_kind:     global_buffer
    .group_segment_fixed_size: 0
    .kernarg_segment_align: 8
    .kernarg_segment_size: 104
    .language:       OpenCL C
    .language_version:
      - 2
      - 0
    .max_flat_workgroup_size: 238
    .name:           fft_rtc_fwd_len306_factors_17_2_9_wgs_238_tpt_34_halfLds_dp_op_CI_CI_sbrr_dirReg
    .private_segment_fixed_size: 0
    .sgpr_count:     62
    .sgpr_spill_count: 0
    .symbol:         fft_rtc_fwd_len306_factors_17_2_9_wgs_238_tpt_34_halfLds_dp_op_CI_CI_sbrr_dirReg.kd
    .uniform_work_group_size: 1
    .uses_dynamic_stack: false
    .vgpr_count:     199
    .vgpr_spill_count: 0
    .wavefront_size: 32
    .workgroup_processor_mode: 1
amdhsa.target:   amdgcn-amd-amdhsa--gfx1201
amdhsa.version:
  - 1
  - 2
...

	.end_amdgpu_metadata
